;; amdgpu-corpus repo=ROCm/rocFFT kind=compiled arch=gfx950 opt=O3
	.text
	.amdgcn_target "amdgcn-amd-amdhsa--gfx950"
	.amdhsa_code_object_version 6
	.protected	bluestein_single_back_len374_dim1_sp_op_CI_CI ; -- Begin function bluestein_single_back_len374_dim1_sp_op_CI_CI
	.globl	bluestein_single_back_len374_dim1_sp_op_CI_CI
	.p2align	8
	.type	bluestein_single_back_len374_dim1_sp_op_CI_CI,@function
bluestein_single_back_len374_dim1_sp_op_CI_CI: ; @bluestein_single_back_len374_dim1_sp_op_CI_CI
; %bb.0:
	s_load_dwordx4 s[8:11], s[0:1], 0x28
	v_mul_u32_u24_e32 v1, 0x788, v0
	v_lshrrev_b32_e32 v2, 16, v1
	v_mad_u64_u32 v[4:5], s[2:3], s2, 7, v[2:3]
	v_mov_b32_e32 v73, 0
	v_mov_b32_e32 v5, v73
	s_waitcnt lgkmcnt(0)
	v_cmp_gt_u64_e32 vcc, s[8:9], v[4:5]
	s_and_saveexec_b64 s[2:3], vcc
	s_cbranch_execz .LBB0_23
; %bb.1:
	v_mul_lo_u16_e32 v1, 34, v2
	s_mov_b32 s2, 0x24924925
	v_sub_u16_e32 v72, v0, v1
	v_mul_hi_u32 v0, v4, s2
	v_sub_u32_e32 v1, v4, v0
	v_lshrrev_b32_e32 v1, 1, v1
	v_add_u32_e32 v0, v1, v0
	v_lshrrev_b32_e32 v0, 2, v0
	s_load_dwordx2 s[8:9], s[0:1], 0x0
	s_load_dwordx2 s[12:13], s[0:1], 0x38
	v_mul_lo_u32 v0, v0, 7
	v_sub_u32_e32 v0, v4, v0
	v_mul_u32_u24_e32 v1, 0x176, v0
	v_lshlrev_b32_e32 v0, 3, v72
	v_accvgpr_write_b32 a2, v0
	v_lshlrev_b32_e32 v0, 3, v1
	v_accvgpr_write_b32 a4, v4
	v_cmp_gt_u16_e32 vcc, 22, v72
	v_accvgpr_write_b32 a5, v1
	v_accvgpr_write_b32 a3, v0
	s_and_saveexec_b64 s[2:3], vcc
	s_cbranch_execz .LBB0_3
; %bb.2:
	s_load_dwordx2 s[4:5], s[0:1], 0x18
	v_accvgpr_read_b32 v10, a4
	v_mov_b32_e32 v0, s10
	v_mov_b32_e32 v1, s11
	;; [unrolled: 1-line block ×3, first 2 shown]
	s_waitcnt lgkmcnt(0)
	s_load_dwordx4 s[4:7], s[4:5], 0x0
	v_accvgpr_read_b32 v74, a2
	v_or_b32_e32 v45, 0x160, v72
	s_waitcnt lgkmcnt(0)
	v_mad_u64_u32 v[2:3], s[10:11], s6, v10, 0
	v_mad_u64_u32 v[4:5], s[10:11], s4, v72, 0
	v_mov_b32_e32 v6, v3
	v_mov_b32_e32 v8, v5
	v_mad_u64_u32 v[6:7], s[6:7], s7, v10, v[6:7]
	v_mov_b32_e32 v3, v6
	v_mad_u64_u32 v[6:7], s[6:7], s5, v72, v[8:9]
	v_mov_b32_e32 v5, v6
	v_lshl_add_u64 v[2:3], v[2:3], 3, v[0:1]
	v_lshl_add_u64 v[4:5], v[4:5], 3, v[2:3]
	v_mad_u64_u32 v[6:7], s[6:7], s4, v68, v[4:5]
	s_mul_i32 s6, s5, 0xb0
	s_nop 0
	v_add_u32_e32 v7, s6, v7
	v_mad_u64_u32 v[16:17], s[10:11], s4, v68, v[6:7]
	v_add_u32_e32 v17, s6, v17
	global_load_dwordx2 v[0:1], v[4:5], off
	v_mad_u64_u32 v[38:39], s[10:11], s4, v45, 0
	global_load_dwordx2 v[4:5], v[6:7], off
	global_load_dwordx2 v[10:11], v74, s[8:9]
	s_nop 0
	global_load_dwordx2 v[6:7], v74, s[8:9] offset:176
	global_load_dwordx2 v[8:9], v74, s[8:9] offset:352
	;; [unrolled: 1-line block ×11, first 2 shown]
	global_load_dwordx2 v[32:33], v[16:17], off
	v_mad_u64_u32 v[16:17], s[10:11], s4, v68, v[16:17]
	v_add_u32_e32 v17, s6, v17
	global_load_dwordx2 v[34:35], v[16:17], off
	v_mad_u64_u32 v[16:17], s[10:11], s4, v68, v[16:17]
	v_add_u32_e32 v17, s6, v17
	;; [unrolled: 3-line block ×10, first 2 shown]
	global_load_dwordx2 v[56:57], v[16:17], off
	global_load_dwordx2 v[58:59], v74, s[8:9] offset:2112
	v_mad_u64_u32 v[16:17], s[10:11], s4, v68, v[16:17]
	v_add_u32_e32 v17, s6, v17
	v_mov_b32_e32 v44, v39
	global_load_dwordx2 v[60:61], v[16:17], off
	v_mad_u64_u32 v[16:17], s[10:11], s4, v68, v[16:17]
	v_add_u32_e32 v17, s6, v17
	v_mad_u64_u32 v[44:45], s[10:11], s5, v45, v[44:45]
	global_load_dwordx2 v[62:63], v74, s[8:9] offset:2288
	global_load_dwordx2 v[64:65], v[16:17], off
	global_load_dwordx2 v[66:67], v74, s[8:9] offset:2464
	v_mad_u64_u32 v[16:17], s[4:5], s4, v68, v[16:17]
	v_mov_b32_e32 v39, v44
	v_add_u32_e32 v17, s6, v17
	v_lshl_add_u64 v[2:3], v[38:39], 3, v[2:3]
	global_load_dwordx2 v[68:69], v[16:17], off
	global_load_dwordx2 v[70:71], v74, s[8:9] offset:2640
	s_nop 0
	global_load_dwordx2 v[16:17], v[2:3], off
	global_load_dwordx2 v[38:39], v74, s[8:9] offset:2816
	v_accvgpr_read_b32 v45, a3
	v_lshl_add_u32 v44, v72, 3, v45
	s_waitcnt vmcnt(31)
	v_mul_f32_e32 v2, v1, v11
	v_mul_f32_e32 v3, v0, v11
	v_fmac_f32_e32 v2, v0, v10
	v_fma_f32 v3, v1, v10, -v3
	ds_write_b64 v44, v[2:3]
	s_waitcnt vmcnt(19)
	v_mul_f32_e32 v2, v32, v9
	v_mul_f32_e32 v0, v5, v7
	;; [unrolled: 1-line block ×3, first 2 shown]
	v_fma_f32 v3, v33, v8, -v2
	v_mul_f32_e32 v2, v33, v9
	v_fmac_f32_e32 v0, v4, v6
	v_fma_f32 v1, v5, v6, -v1
	v_fmac_f32_e32 v2, v32, v8
	v_add_u32_e32 v4, v45, v74
	ds_write2_b64 v4, v[0:1], v[2:3] offset0:22 offset1:44
	s_waitcnt vmcnt(18)
	v_mul_f32_e32 v0, v35, v13
	v_mul_f32_e32 v1, v34, v13
	s_waitcnt vmcnt(17)
	v_mul_f32_e32 v2, v37, v15
	v_mul_f32_e32 v3, v36, v15
	v_fmac_f32_e32 v0, v34, v12
	v_fma_f32 v1, v35, v12, -v1
	v_fmac_f32_e32 v2, v36, v14
	v_fma_f32 v3, v37, v14, -v3
	ds_write2_b64 v4, v[0:1], v[2:3] offset0:66 offset1:88
	s_waitcnt vmcnt(16)
	v_mul_f32_e32 v0, v41, v19
	v_mul_f32_e32 v1, v40, v19
	s_waitcnt vmcnt(15)
	v_mul_f32_e32 v2, v43, v21
	v_mul_f32_e32 v3, v42, v21
	v_fmac_f32_e32 v0, v40, v18
	v_fma_f32 v1, v41, v18, -v1
	v_fmac_f32_e32 v2, v42, v20
	v_fma_f32 v3, v43, v20, -v3
	;; [unrolled: 11-line block ×5, first 2 shown]
	v_add_u32_e32 v5, 0x400, v4
	ds_write2_b64 v5, v[0:1], v[2:3] offset0:114 offset1:136
	s_waitcnt vmcnt(6)
	v_mul_f32_e32 v0, v61, v63
	v_mul_f32_e32 v1, v60, v63
	s_waitcnt vmcnt(4)
	v_mul_f32_e32 v2, v65, v67
	v_mul_f32_e32 v3, v64, v67
	v_fmac_f32_e32 v0, v60, v62
	v_fma_f32 v1, v61, v62, -v1
	v_fmac_f32_e32 v2, v64, v66
	v_fma_f32 v3, v65, v66, -v3
	v_add_u32_e32 v4, 0x800, v4
	ds_write2_b64 v4, v[0:1], v[2:3] offset0:30 offset1:52
	s_waitcnt vmcnt(2)
	v_mul_f32_e32 v0, v69, v71
	v_mul_f32_e32 v1, v68, v71
	s_waitcnt vmcnt(0)
	v_mul_f32_e32 v2, v17, v39
	v_mul_f32_e32 v3, v16, v39
	v_fmac_f32_e32 v0, v68, v70
	v_fma_f32 v1, v69, v70, -v1
	v_fmac_f32_e32 v2, v16, v38
	v_fma_f32 v3, v17, v38, -v3
	ds_write2_b64 v4, v[0:1], v[2:3] offset0:74 offset1:96
.LBB0_3:
	s_or_b64 exec, exec, s[2:3]
	v_accvgpr_write_b32 a0, v72
	v_accvgpr_write_b32 a1, v73
	v_mov_b32_e32 v0, 0
	v_mov_b32_e32 v1, 0
	s_waitcnt lgkmcnt(0)
	s_barrier
	s_waitcnt lgkmcnt(0)
                                        ; implicit-def: $vgpr38
                                        ; implicit-def: $vgpr8
                                        ; implicit-def: $vgpr26
                                        ; implicit-def: $vgpr12
                                        ; implicit-def: $vgpr30
                                        ; implicit-def: $vgpr18
                                        ; implicit-def: $vgpr32
                                        ; implicit-def: $vgpr4
	s_and_saveexec_b64 s[2:3], vcc
	s_cbranch_execz .LBB0_5
; %bb.4:
	v_accvgpr_read_b32 v0, a2
	v_accvgpr_read_b32 v1, a5
	v_lshl_add_u32 v4, v1, 3, v0
	ds_read2_b64 v[0:3], v4 offset1:22
	ds_read2_b64 v[32:35], v4 offset0:44 offset1:66
	ds_read2_b64 v[28:31], v4 offset0:88 offset1:110
	;; [unrolled: 1-line block ×5, first 2 shown]
	v_add_u32_e32 v5, 0x800, v4
	ds_read2_b64 v[12:15], v5 offset0:8 offset1:30
	ds_read2_b64 v[16:19], v5 offset0:52 offset1:74
	ds_read_b64 v[4:5], v4 offset:2816
.LBB0_5:
	s_or_b64 exec, exec, s[2:3]
	s_waitcnt lgkmcnt(0)
	v_accvgpr_write_b32 a19, v5
	v_pk_add_f32 v[44:45], v[2:3], v[4:5] neg_lo:[0,1] neg_hi:[0,1]
	s_mov_b32 s6, 0xbf4c4adb
	v_pk_add_f32 v[40:41], v[4:5], v[2:3]
	v_accvgpr_write_b32 a18, v4
	s_mov_b32 s4, 0xbf1a4643
	v_pk_mul_f32 v[4:5], v[44:45], s[6:7] op_sel_hi:[1,0]
	v_pk_add_f32 v[46:47], v[32:33], v[18:19] neg_lo:[0,1] neg_hi:[0,1]
	s_mov_b32 s38, 0x3f763a35
	v_pk_fma_f32 v[6:7], v[40:41], s[4:5], v[4:5] op_sel:[0,0,1] op_sel_hi:[1,0,0]
	v_pk_add_f32 v[42:43], v[18:19], v[32:33]
	s_mov_b32 s10, 0xbe8c1d8e
	v_pk_fma_f32 v[76:77], v[40:41], s[4:5], v[4:5] op_sel:[0,0,1] op_sel_hi:[1,0,0] neg_lo:[0,0,1] neg_hi:[0,0,1]
	v_accvgpr_write_b32 a21, v7
	v_mov_b32_e32 v4, v6
	v_pk_mul_f32 v[6:7], v[46:47], s[38:39] op_sel_hi:[1,0]
	s_mov_b32 s22, 0xbeb8f4ab
	v_pk_add_f32 v[56:57], v[34:35], v[16:17] neg_lo:[0,1] neg_hi:[0,1]
	v_pk_fma_f32 v[20:21], v[42:43], s[10:11], v[6:7] op_sel:[0,0,1] op_sel_hi:[1,0,0]
	s_mov_b32 s2, 0x3f6eb680
	v_pk_add_f32 v[52:53], v[16:17], v[34:35]
	v_mov_b32_e32 v5, v77
	v_pk_fma_f32 v[80:81], v[42:43], s[10:11], v[6:7] op_sel:[0,0,1] op_sel_hi:[1,0,0] neg_lo:[0,0,1] neg_hi:[0,0,1]
	v_accvgpr_write_b32 a23, v21
	v_mov_b32_e32 v6, v20
	v_pk_mul_f32 v[20:21], v[56:57], s[22:23] op_sel_hi:[1,0]
	v_mov_b32_e32 v7, v81
	v_pk_fma_f32 v[22:23], v[52:53], s[2:3], v[20:21] op_sel:[0,0,1] op_sel_hi:[1,0,0]
	v_pk_fma_f32 v[84:85], v[52:53], s[2:3], v[20:21] op_sel:[0,0,1] op_sel_hi:[1,0,0] neg_lo:[0,0,1] neg_hi:[0,0,1]
	v_pk_add_f32 v[4:5], v[4:5], v[0:1]
	v_pk_add_f32 v[60:61], v[28:29], v[14:15] neg_lo:[0,1] neg_hi:[0,1]
	s_mov_b32 s16, 0xbf06c442
	v_pk_add_f32 v[4:5], v[6:7], v[4:5]
	v_mov_b32_e32 v6, v22
	v_mov_b32_e32 v7, v85
	v_pk_add_f32 v[58:59], v[14:15], v[28:29]
	s_mov_b32 s14, 0xbf59a7d5
	v_pk_add_f32 v[4:5], v[6:7], v[4:5]
	v_pk_mul_f32 v[6:7], v[60:61], s[16:17] op_sel:[1,0] op_sel_hi:[0,0]
	v_pk_fma_f32 v[20:21], v[58:59], s[14:15], v[6:7] op_sel_hi:[1,0,1]
	v_pk_fma_f32 v[88:89], v[58:59], s[14:15], v[6:7] op_sel_hi:[1,0,1] neg_lo:[0,0,1] neg_hi:[0,0,1]
	v_mov_b32_e32 v6, v20
	v_mov_b32_e32 v7, v89
	s_mov_b32 s20, 0x3f7ee86f
	v_pk_add_f32 v[124:125], v[30:31], v[12:13] neg_lo:[0,1] neg_hi:[0,1]
	v_pk_add_f32 v[4:5], v[6:7], v[4:5]
	s_mov_b32 s18, 0x3dbcf732
	v_pk_add_f32 v[62:63], v[12:13], v[30:31]
	v_pk_mul_f32 v[6:7], v[124:125], s[20:21] op_sel:[1,0] op_sel_hi:[0,0]
	v_accvgpr_write_b32 a27, v21
	v_pk_fma_f32 v[20:21], v[62:63], s[18:19], v[6:7] op_sel_hi:[1,0,1]
	v_pk_fma_f32 v[92:93], v[62:63], s[18:19], v[6:7] op_sel_hi:[1,0,1] neg_lo:[0,0,1] neg_hi:[0,0,1]
	v_mov_b32_e32 v6, v20
	v_mov_b32_e32 v7, v93
	s_mov_b32 s42, 0xbf2c7751
	v_pk_add_f32 v[126:127], v[24:25], v[10:11] neg_lo:[0,1] neg_hi:[0,1]
	v_pk_add_f32 v[4:5], v[6:7], v[4:5]
	s_mov_b32 s24, 0x3f3d2fb0
	v_pk_add_f32 v[70:71], v[10:11], v[24:25]
	v_pk_mul_f32 v[6:7], v[126:127], s[42:43] op_sel:[1,0] op_sel_hi:[0,0]
	v_accvgpr_write_b32 a29, v21
	;; [unrolled: 11-line block ×3, first 2 shown]
	v_pk_fma_f32 v[20:21], v[72:73], s[30:31], v[6:7] op_sel_hi:[1,0,1]
	v_pk_fma_f32 v[100:101], v[72:73], s[30:31], v[6:7] op_sel_hi:[1,0,1] neg_lo:[0,0,1] neg_hi:[0,0,1]
	v_mov_b32_e32 v6, v20
	v_mov_b32_e32 v7, v101
	v_pk_add_f32 v[4:5], v[6:7], v[4:5]
	v_pk_mul_f32 v[6:7], v[44:45], s[16:17] op_sel_hi:[1,0]
	v_accvgpr_write_b32 a33, v21
	s_mov_b32 s28, 0x3f65296c
	v_pk_fma_f32 v[20:21], v[40:41], s[14:15], v[6:7] op_sel:[0,0,1] op_sel_hi:[1,0,0]
	s_mov_b32 s26, 0x3ee437d1
	v_pk_fma_f32 v[104:105], v[40:41], s[14:15], v[6:7] op_sel:[0,0,1] op_sel_hi:[1,0,0] neg_lo:[0,0,1] neg_hi:[0,0,1]
	v_mov_b32_e32 v77, v21
	v_mov_b32_e32 v6, v20
	v_pk_mul_f32 v[20:21], v[46:47], s[28:29] op_sel_hi:[1,0]
	v_accvgpr_write_b32 a25, v23
	v_mov_b32_e32 v7, v105
	v_pk_fma_f32 v[22:23], v[42:43], s[26:27], v[20:21] op_sel:[0,0,1] op_sel_hi:[1,0,0]
	v_pk_fma_f32 v[106:107], v[42:43], s[26:27], v[20:21] op_sel:[0,0,1] op_sel_hi:[1,0,0] neg_lo:[0,0,1] neg_hi:[0,0,1]
	v_mov_b32_e32 v20, v22
	v_mov_b32_e32 v21, v107
	v_pk_add_f32 v[6:7], v[6:7], v[0:1]
	s_mov_b32 s44, 0xbf7ee86f
	v_pk_add_f32 v[6:7], v[20:21], v[6:7]
	v_pk_mul_f32 v[20:21], v[56:57], s[44:45] op_sel_hi:[1,0]
	v_mov_b32_e32 v81, v23
	v_pk_fma_f32 v[22:23], v[52:53], s[18:19], v[20:21] op_sel:[0,0,1] op_sel_hi:[1,0,0]
	v_pk_fma_f32 v[108:109], v[52:53], s[18:19], v[20:21] op_sel:[0,0,1] op_sel_hi:[1,0,0] neg_lo:[0,0,1] neg_hi:[0,0,1]
	v_mov_b32_e32 v20, v22
	v_mov_b32_e32 v21, v109
	s_mov_b32 s46, 0x3f4c4adb
	v_pk_add_f32 v[6:7], v[20:21], v[6:7]
	v_pk_mul_f32 v[20:21], v[60:61], s[46:47] op_sel:[1,0] op_sel_hi:[0,0]
	v_mov_b32_e32 v85, v23
	v_pk_fma_f32 v[22:23], v[58:59], s[4:5], v[20:21] op_sel_hi:[1,0,1]
	v_pk_fma_f32 v[110:111], v[58:59], s[4:5], v[20:21] op_sel_hi:[1,0,1] neg_lo:[0,0,1] neg_hi:[0,0,1]
	v_mov_b32_e32 v20, v22
	v_mov_b32_e32 v21, v111
	v_pk_add_f32 v[6:7], v[20:21], v[6:7]
	v_pk_mul_f32 v[20:21], v[124:125], s[22:23] op_sel:[1,0] op_sel_hi:[0,0]
	v_mov_b32_e32 v89, v23
	v_pk_fma_f32 v[22:23], v[62:63], s[2:3], v[20:21] op_sel_hi:[1,0,1]
	v_pk_fma_f32 v[112:113], v[62:63], s[2:3], v[20:21] op_sel_hi:[1,0,1] neg_lo:[0,0,1] neg_hi:[0,0,1]
	v_mov_b32_e32 v20, v22
	v_mov_b32_e32 v21, v113
	;; [unrolled: 7-line block ×3, first 2 shown]
	s_mov_b32 s40, 0x3f2c7751
	v_pk_add_f32 v[6:7], v[20:21], v[6:7]
	v_pk_mul_f32 v[20:21], v[128:129], s[40:41] op_sel:[1,0] op_sel_hi:[0,0]
	v_mov_b32_e32 v97, v23
	v_pk_fma_f32 v[22:23], v[72:73], s[24:25], v[20:21] op_sel_hi:[1,0,1]
	v_pk_fma_f32 v[116:117], v[72:73], s[24:25], v[20:21] op_sel_hi:[1,0,1] neg_lo:[0,0,1] neg_hi:[0,0,1]
	v_mov_b32_e32 v20, v22
	v_mov_b32_e32 v21, v117
	v_pk_add_f32 v[176:177], v[36:37], v[38:39] neg_lo:[0,1] neg_hi:[0,1]
	v_pk_add_f32 v[6:7], v[20:21], v[6:7]
	v_pk_add_f32 v[102:103], v[38:39], v[36:37]
	v_pk_mul_f32 v[20:21], v[176:177], s[28:29] op_sel:[1,0] op_sel_hi:[0,0]
	v_accvgpr_write_b32 a37, v23
	v_pk_fma_f32 v[22:23], v[102:103], s[26:27], v[20:21] op_sel_hi:[1,0,1]
	v_pk_fma_f32 v[122:123], v[102:103], s[26:27], v[20:21] op_sel_hi:[1,0,1] neg_lo:[0,0,1] neg_hi:[0,0,1]
	s_mov_b32 s36, 0xbf763a35
	v_accvgpr_write_b32 a14, v36
	v_mov_b32_e32 v20, v22
	v_mov_b32_e32 v21, v123
	v_accvgpr_write_b32 a15, v37
	v_accvgpr_write_b32 a16, v38
	;; [unrolled: 1-line block ×3, first 2 shown]
	v_pk_add_f32 v[38:39], v[20:21], v[4:5]
	v_pk_mul_f32 v[4:5], v[176:177], s[36:37] op_sel:[1,0] op_sel_hi:[0,0]
	v_pk_fma_f32 v[20:21], v[102:103], s[10:11], v[4:5] op_sel_hi:[1,0,1]
	v_pk_fma_f32 v[118:119], v[102:103], s[10:11], v[4:5] op_sel_hi:[1,0,1] neg_lo:[0,0,1] neg_hi:[0,0,1]
	v_mov_b32_e32 v4, v20
	v_mov_b32_e32 v5, v119
	v_pk_add_f32 v[36:37], v[4:5], v[6:7]
	v_pk_mul_f32 v[4:5], v[44:45], s[22:23] op_sel_hi:[1,0]
	v_accvgpr_write_b32 a39, v21
	v_pk_fma_f32 v[6:7], v[40:41], s[2:3], v[4:5] op_sel:[0,0,1] op_sel_hi:[1,0,0]
	v_pk_fma_f32 v[160:161], v[40:41], s[2:3], v[4:5] op_sel:[0,0,1] op_sel_hi:[1,0,0] neg_lo:[0,0,1] neg_hi:[0,0,1]
	v_mov_b32_e32 v123, v7
	v_mov_b32_e32 v4, v6
	v_pk_mul_f32 v[6:7], v[46:47], s[42:43] op_sel_hi:[1,0]
	v_mov_b32_e32 v5, v161
	v_pk_fma_f32 v[20:21], v[42:43], s[24:25], v[6:7] op_sel:[0,0,1] op_sel_hi:[1,0,0]
	v_pk_fma_f32 v[166:167], v[42:43], s[24:25], v[6:7] op_sel:[0,0,1] op_sel_hi:[1,0,0] neg_lo:[0,0,1] neg_hi:[0,0,1]
	v_pk_add_f32 v[4:5], v[4:5], v[0:1]
	v_mov_b32_e32 v6, v20
	v_mov_b32_e32 v7, v167
	v_pk_add_f32 v[4:5], v[6:7], v[4:5]
	v_pk_mul_f32 v[6:7], v[44:45], s[42:43] op_sel_hi:[1,0]
	v_mov_b32_e32 v101, v21
	v_pk_fma_f32 v[184:185], v[40:41], s[24:25], v[6:7] op_sel:[0,0,1] op_sel_hi:[1,0,0]
	v_pk_fma_f32 v[144:145], v[40:41], s[24:25], v[6:7] op_sel:[0,0,1] op_sel_hi:[1,0,0] neg_lo:[0,0,1] neg_hi:[0,0,1]
	v_pk_mul_f32 v[6:7], v[46:47], s[44:45] op_sel_hi:[1,0]
	s_mov_b32 s48, 0xbf65296c
	v_pk_fma_f32 v[186:187], v[42:43], s[18:19], v[6:7] op_sel:[0,0,1] op_sel_hi:[1,0,0]
	v_pk_fma_f32 v[148:149], v[42:43], s[18:19], v[6:7] op_sel:[0,0,1] op_sel_hi:[1,0,0] neg_lo:[0,0,1] neg_hi:[0,0,1]
	v_mov_b32_e32 v6, v184
	v_mov_b32_e32 v7, v145
	v_pk_add_f32 v[6:7], v[6:7], v[0:1]
	v_mov_b32_e32 v20, v186
	v_mov_b32_e32 v21, v149
	v_pk_add_f32 v[6:7], v[20:21], v[6:7]
	v_pk_mul_f32 v[20:21], v[46:47], s[6:7] op_sel_hi:[1,0]
	v_accvgpr_write_b32 a35, v23
	v_pk_fma_f32 v[190:191], v[42:43], s[4:5], v[20:21] op_sel:[0,0,1] op_sel_hi:[1,0,0]
	v_pk_fma_f32 v[138:139], v[42:43], s[4:5], v[20:21] op_sel:[0,0,1] op_sel_hi:[1,0,0] neg_lo:[0,0,1] neg_hi:[0,0,1]
	v_pk_mul_f32 v[20:21], v[44:45], s[48:49] op_sel_hi:[1,0]
	v_mov_b32_e32 v22, v190
	v_pk_fma_f32 v[196:197], v[40:41], s[26:27], v[20:21] op_sel:[0,0,1] op_sel_hi:[1,0,0]
	v_pk_fma_f32 v[140:141], v[40:41], s[26:27], v[20:21] op_sel:[0,0,1] op_sel_hi:[1,0,0] neg_lo:[0,0,1] neg_hi:[0,0,1]
	v_mov_b32_e32 v20, v196
	v_mov_b32_e32 v21, v141
	v_pk_add_f32 v[20:21], v[20:21], v[0:1]
	v_mov_b32_e32 v23, v139
	v_pk_add_f32 v[20:21], v[22:23], v[20:21]
	v_pk_mul_f32 v[22:23], v[44:45], s[44:45] op_sel_hi:[1,0]
	v_pk_mul_f32 v[48:49], v[46:47], s[34:35] op_sel_hi:[1,0]
	v_pk_fma_f32 v[204:205], v[40:41], s[18:19], v[22:23] op_sel:[0,0,1] op_sel_hi:[1,0,0]
	v_pk_fma_f32 v[132:133], v[40:41], s[18:19], v[22:23] op_sel:[0,0,1] op_sel_hi:[1,0,0] neg_lo:[0,0,1] neg_hi:[0,0,1]
	v_mov_b32_e32 v22, v204
	v_mov_b32_e32 v23, v133
	v_pk_fma_f32 v[210:211], v[42:43], s[30:31], v[48:49] op_sel:[0,0,1] op_sel_hi:[1,0,0]
	v_pk_fma_f32 v[136:137], v[42:43], s[30:31], v[48:49] op_sel:[0,0,1] op_sel_hi:[1,0,0] neg_lo:[0,0,1] neg_hi:[0,0,1]
	v_mov_b32_e32 v48, v210
	v_mov_b32_e32 v49, v137
	v_pk_add_f32 v[22:23], v[22:23], v[0:1]
	s_mov_b32 s42, 0x3e3c28d5
	v_pk_add_f32 v[22:23], v[48:49], v[22:23]
	v_pk_mul_f32 v[48:49], v[56:57], s[48:49] op_sel_hi:[1,0]
	s_mov_b32 s50, 0x3f06c442
	v_pk_fma_f32 v[192:193], v[52:53], s[26:27], v[48:49] op_sel:[0,0,1] op_sel_hi:[1,0,0]
	v_pk_fma_f32 v[194:195], v[52:53], s[26:27], v[48:49] op_sel:[0,0,1] op_sel_hi:[1,0,0] neg_lo:[0,0,1] neg_hi:[0,0,1]
	v_mov_b32_e32 v48, v192
	v_mov_b32_e32 v49, v195
	v_pk_add_f32 v[4:5], v[48:49], v[4:5]
	v_pk_mul_f32 v[48:49], v[56:57], s[6:7] op_sel_hi:[1,0]
	v_pk_mul_f32 v[50:51], v[46:47], s[50:51] op_sel_hi:[1,0]
	v_pk_fma_f32 v[180:181], v[52:53], s[4:5], v[48:49] op_sel:[0,0,1] op_sel_hi:[1,0,0]
	v_pk_fma_f32 v[182:183], v[52:53], s[4:5], v[48:49] op_sel:[0,0,1] op_sel_hi:[1,0,0] neg_lo:[0,0,1] neg_hi:[0,0,1]
	v_mov_b32_e32 v48, v180
	v_mov_b32_e32 v49, v183
	v_pk_add_f32 v[6:7], v[48:49], v[6:7]
	v_pk_mul_f32 v[48:49], v[56:57], s[42:43] op_sel_hi:[1,0]
	v_pk_fma_f32 v[250:251], v[42:43], s[14:15], v[50:51] op_sel:[0,0,1] op_sel_hi:[1,0,0]
	v_pk_fma_f32 v[216:217], v[52:53], s[30:31], v[48:49] op_sel:[0,0,1] op_sel_hi:[1,0,0]
	v_pk_fma_f32 v[170:171], v[52:53], s[30:31], v[48:49] op_sel:[0,0,1] op_sel_hi:[1,0,0] neg_lo:[0,0,1] neg_hi:[0,0,1]
	v_mov_b32_e32 v48, v216
	v_mov_b32_e32 v49, v171
	v_pk_add_f32 v[20:21], v[48:49], v[20:21]
	v_pk_mul_f32 v[48:49], v[56:57], s[38:39] op_sel_hi:[1,0]
	v_pk_fma_f32 v[150:151], v[42:43], s[14:15], v[50:51] op_sel:[0,0,1] op_sel_hi:[1,0,0] neg_lo:[0,0,1] neg_hi:[0,0,1]
	v_pk_fma_f32 v[230:231], v[52:53], s[10:11], v[48:49] op_sel:[0,0,1] op_sel_hi:[1,0,0]
	v_pk_fma_f32 v[152:153], v[52:53], s[10:11], v[48:49] op_sel:[0,0,1] op_sel_hi:[1,0,0] neg_lo:[0,0,1] neg_hi:[0,0,1]
	v_mov_b32_e32 v48, v230
	v_mov_b32_e32 v49, v153
	v_pk_add_f32 v[22:23], v[48:49], v[22:23]
	v_pk_mul_f32 v[48:49], v[44:45], s[36:37] op_sel_hi:[1,0]
	v_mov_b32_e32 v50, v250
	v_pk_fma_f32 v[240:241], v[40:41], s[10:11], v[48:49] op_sel:[0,0,1] op_sel_hi:[1,0,0]
	v_pk_fma_f32 v[142:143], v[40:41], s[10:11], v[48:49] op_sel:[0,0,1] op_sel_hi:[1,0,0] neg_lo:[0,0,1] neg_hi:[0,0,1]
	v_mov_b32_e32 v48, v240
	v_mov_b32_e32 v49, v143
	;; [unrolled: 1-line block ×3, first 2 shown]
	v_pk_add_f32 v[48:49], v[48:49], v[0:1]
	s_mov_b32 s42, 0x3eb8f4ab
	v_pk_add_f32 v[48:49], v[50:51], v[48:49]
	v_pk_mul_f32 v[50:51], v[56:57], s[40:41] op_sel_hi:[1,0]
	s_nop 0
	v_pk_fma_f32 v[252:253], v[52:53], s[24:25], v[50:51] op_sel:[0,0,1] op_sel_hi:[1,0,0]
	v_pk_fma_f32 v[156:157], v[52:53], s[24:25], v[50:51] op_sel:[0,0,1] op_sel_hi:[1,0,0] neg_lo:[0,0,1] neg_hi:[0,0,1]
	v_mov_b32_e32 v50, v252
	v_mov_b32_e32 v51, v157
	v_pk_add_f32 v[48:49], v[50:51], v[48:49]
	v_pk_mul_f32 v[50:51], v[60:61], s[44:45] op_sel:[1,0] op_sel_hi:[0,0]
	v_pk_fma_f32 v[226:227], v[58:59], s[18:19], v[50:51] op_sel_hi:[1,0,1]
	v_pk_fma_f32 v[228:229], v[58:59], s[18:19], v[50:51] op_sel_hi:[1,0,1] neg_lo:[0,0,1] neg_hi:[0,0,1]
	v_mov_b32_e32 v50, v226
	v_mov_b32_e32 v51, v229
	v_pk_add_f32 v[4:5], v[50:51], v[4:5]
	v_pk_mul_f32 v[50:51], v[60:61], s[34:35] op_sel:[1,0] op_sel_hi:[0,0]
	v_pk_fma_f32 v[212:213], v[58:59], s[30:31], v[50:51] op_sel_hi:[1,0,1]
	v_pk_fma_f32 v[214:215], v[58:59], s[30:31], v[50:51] op_sel_hi:[1,0,1] neg_lo:[0,0,1] neg_hi:[0,0,1]
	;; [unrolled: 6-line block ×21, first 2 shown]
	v_mov_b32_e32 v50, v162
	v_mov_b32_e32 v51, v159
	v_pk_add_f32 v[4:5], v[50:51], v[4:5]
	s_load_dwordx2 s[38:39], s[0:1], 0x20
	s_load_dwordx2 s[22:23], s[0:1], 0x8
	v_accvgpr_write_b32 a7, v5
	v_accvgpr_write_b32 a6, v4
	v_pk_mul_f32 v[4:5], v[176:177], s[16:17] op_sel:[1,0] op_sel_hi:[0,0]
	v_pk_fma_f32 v[146:147], v[102:103], s[14:15], v[4:5] op_sel_hi:[1,0,1]
	v_pk_fma_f32 v[50:51], v[102:103], s[14:15], v[4:5] op_sel_hi:[1,0,1] neg_lo:[0,0,1] neg_hi:[0,0,1]
	v_mov_b32_e32 v4, v146
	v_mov_b32_e32 v5, v51
	v_pk_add_f32 v[4:5], v[4:5], v[6:7]
	v_pk_mul_f32 v[6:7], v[176:177], s[34:35] op_sel:[1,0] op_sel_hi:[0,0]
	v_accvgpr_write_b32 a9, v5
	v_accvgpr_write_b32 a8, v4
	v_pk_mul_f32 v[4:5], v[176:177], s[40:41] op_sel:[1,0] op_sel_hi:[0,0]
	v_pk_fma_f32 v[68:69], v[102:103], s[24:25], v[4:5] op_sel_hi:[1,0,1]
	v_pk_fma_f32 v[66:67], v[102:103], s[24:25], v[4:5] op_sel_hi:[1,0,1] neg_lo:[0,0,1] neg_hi:[0,0,1]
	v_mov_b32_e32 v4, v68
	v_mov_b32_e32 v5, v67
	v_pk_add_f32 v[4:5], v[4:5], v[94:95]
	s_waitcnt lgkmcnt(0)
	v_accvgpr_write_b32 a11, v5
	v_accvgpr_write_b32 a10, v4
	v_pk_mul_f32 v[4:5], v[176:177], s[6:7] op_sel:[1,0] op_sel_hi:[0,0]
	v_pk_fma_f32 v[98:99], v[102:103], s[4:5], v[4:5] op_sel_hi:[1,0,1]
	v_pk_fma_f32 v[94:95], v[102:103], s[4:5], v[4:5] op_sel_hi:[1,0,1] neg_lo:[0,0,1] neg_hi:[0,0,1]
	v_mov_b32_e32 v4, v98
	v_mov_b32_e32 v5, v95
	v_pk_add_f32 v[4:5], v[4:5], v[172:173]
	v_pk_fma_f32 v[172:173], v[102:103], s[30:31], v[6:7] op_sel_hi:[1,0,1] neg_lo:[0,0,1] neg_hi:[0,0,1]
	v_accvgpr_write_b32 a13, v5
	v_accvgpr_write_b32 a12, v4
	v_pk_fma_f32 v[4:5], v[102:103], s[30:31], v[6:7] op_sel_hi:[1,0,1]
	v_mov_b32_e32 v7, v173
	v_mov_b32_e32 v6, v4
	v_pk_add_f32 v[174:175], v[6:7], v[174:175]
	v_accvgpr_read_b32 v7, a1
	v_accvgpr_read_b32 v6, a0
	v_mul_lo_u16_e32 v22, 17, v6
	s_barrier
	s_and_saveexec_b64 s[0:1], vcc
	s_cbranch_execz .LBB0_7
; %bb.6:
	v_pk_add_f32 v[2:3], v[2:3], v[0:1]
	v_mov_b32_e32 v161, v123
	v_pk_add_f32 v[2:3], v[32:33], v[2:3]
	v_mov_b32_e32 v167, v101
	v_pk_add_f32 v[2:3], v[34:35], v[2:3]
	v_accvgpr_read_b32 v35, a17
	v_pk_add_f32 v[2:3], v[28:29], v[2:3]
	v_accvgpr_read_b32 v33, a15
	;; [unrolled: 2-line block ×4, first 2 shown]
	v_pk_add_f32 v[2:3], v[26:27], v[2:3]
	v_mov_b32_e32 v195, v193
	v_pk_add_f32 v[2:3], v[32:33], v[2:3]
	v_mov_b32_e32 v229, v227
	;; [unrolled: 2-line block ×3, first 2 shown]
	v_pk_add_f32 v[2:3], v[8:9], v[2:3]
	v_accvgpr_read_b32 v8, a18
	v_pk_add_f32 v[2:3], v[10:11], v[2:3]
	v_accvgpr_read_b32 v9, a19
	v_pk_add_f32 v[2:3], v[12:13], v[2:3]
	v_mov_b32_e32 v49, v23
	v_pk_add_f32 v[2:3], v[14:15], v[2:3]
	v_mov_b32_e32 v155, v165
	v_pk_add_f32 v[2:3], v[16:17], v[2:3]
	v_accvgpr_read_b32 v4, a5
	v_pk_add_f32 v[2:3], v[18:19], v[2:3]
	v_mov_b32_e32 v173, v5
	v_pk_add_f32 v[2:3], v[8:9], v[2:3]
	v_pk_add_f32 v[8:9], v[160:161], v[0:1]
	v_mov_b32_e32 v7, v60
	v_pk_add_f32 v[8:9], v[166:167], v[8:9]
	v_mov_b32_e32 v141, v197
	;; [unrolled: 2-line block ×3, first 2 shown]
	v_pk_add_f32 v[8:9], v[228:229], v[8:9]
	v_add_lshl_u32 v60, v4, v22, 3
	v_pk_add_f32 v[8:9], v[254:255], v[8:9]
	v_mov_b32_e32 v139, v191
	v_pk_add_f32 v[8:9], v[48:49], v[8:9]
	v_mov_b32_e32 v149, v187
	;; [unrolled: 2-line block ×3, first 2 shown]
	v_pk_add_f32 v[4:5], v[172:173], v[8:9]
	ds_write2_b64 v60, v[2:3], v[4:5] offset1:1
	v_pk_add_f32 v[2:3], v[144:145], v[0:1]
	v_pk_add_f32 v[4:5], v[140:141], v[0:1]
	v_pk_add_f32 v[2:3], v[148:149], v[2:3]
	v_mov_b32_e32 v183, v181
	v_pk_add_f32 v[4:5], v[138:139], v[4:5]
	v_pk_add_f32 v[2:3], v[182:183], v[2:3]
	v_mov_b32_e32 v215, v213
	v_pk_add_f32 v[4:5], v[170:171], v[4:5]
	v_mov_b32_e32 v201, v199
	;; [unrolled: 2-line block ×10, first 2 shown]
	v_mov_b32_e32 v143, v241
	v_mov_b32_e32 v133, v205
	v_pk_add_f32 v[2:3], v[158:159], v[2:3]
	v_pk_add_f32 v[4:5], v[50:51], v[4:5]
	v_mov_b32_e32 v151, v251
	v_mov_b32_e32 v137, v211
	ds_write2_b64 v60, v[2:3], v[4:5] offset0:2 offset1:3
	v_pk_add_f32 v[2:3], v[132:133], v[0:1]
	v_pk_add_f32 v[4:5], v[142:143], v[0:1]
	v_mov_b32_e32 v157, v253
	v_mov_b32_e32 v153, v231
	v_pk_add_f32 v[2:3], v[136:137], v[2:3]
	v_pk_add_f32 v[4:5], v[150:151], v[4:5]
	v_mov_b32_e32 v179, v131
	v_mov_b32_e32 v189, v121
	v_pk_add_f32 v[2:3], v[152:153], v[2:3]
	v_pk_add_f32 v[4:5], v[156:157], v[4:5]
	v_mov_b32_e32 v203, v169
	v_pk_add_f32 v[2:3], v[188:189], v[2:3]
	v_mov_b32_e32 v209, v207
	v_pk_add_f32 v[4:5], v[178:179], v[4:5]
	v_pk_add_f32 v[2:3], v[208:209], v[2:3]
	v_mov_b32_e32 v235, v233
	v_pk_add_f32 v[4:5], v[202:203], v[4:5]
	v_mov_b32_e32 v223, v221
	;; [unrolled: 2-line block ×6, first 2 shown]
	v_mov_b32_e32 v105, v77
	v_pk_add_f32 v[2:3], v[66:67], v[2:3]
	v_pk_add_f32 v[4:5], v[94:95], v[4:5]
	v_accvgpr_read_b32 v77, a21
	v_mov_b32_e32 v107, v81
	ds_write2_b64 v60, v[2:3], v[4:5] offset0:4 offset1:5
	v_pk_add_f32 v[2:3], v[76:77], v[0:1]
	v_accvgpr_read_b32 v81, a23
	v_pk_add_f32 v[4:5], v[104:105], v[0:1]
	v_mov_b32_e32 v109, v85
	v_pk_add_f32 v[2:3], v[80:81], v[2:3]
	v_accvgpr_read_b32 v85, a25
	v_pk_add_f32 v[4:5], v[106:107], v[4:5]
	v_mov_b32_e32 v111, v89
	;; [unrolled: 4-line block ×4, first 2 shown]
	v_pk_add_f32 v[2:3], v[92:93], v[2:3]
	v_accvgpr_read_b32 v97, a31
	v_pk_add_f32 v[4:5], v[112:113], v[4:5]
	v_accvgpr_read_b32 v117, a37
	;; [unrolled: 2-line block ×5, first 2 shown]
	v_pk_add_f32 v[4:5], v[116:117], v[4:5]
	v_pk_add_f32 v[2:3], v[122:123], v[2:3]
	;; [unrolled: 1-line block ×3, first 2 shown]
	ds_write2_b64 v60, v[2:3], v[4:5] offset0:6 offset1:7
	v_pk_mul_f32 v[2:3], v[44:45], s[34:35] op_sel_hi:[1,0]
	v_pk_mul_f32 v[10:11], v[46:47], s[42:43] op_sel_hi:[1,0]
	v_pk_fma_f32 v[4:5], v[40:41], s[30:31], v[2:3] op_sel:[0,0,1] op_sel_hi:[1,0,0] neg_lo:[0,0,1] neg_hi:[0,0,1]
	v_pk_fma_f32 v[2:3], v[40:41], s[30:31], v[2:3] op_sel:[0,0,1] op_sel_hi:[1,0,0]
	v_mov_b32_e32 v8, v4
	v_mov_b32_e32 v9, v3
	v_pk_fma_f32 v[12:13], v[42:43], s[2:3], v[10:11] op_sel:[0,0,1] op_sel_hi:[1,0,0] neg_lo:[0,0,1] neg_hi:[0,0,1]
	v_pk_fma_f32 v[10:11], v[42:43], s[2:3], v[10:11] op_sel:[0,0,1] op_sel_hi:[1,0,0]
	v_pk_add_f32 v[8:9], v[8:9], v[0:1]
	v_mov_b32_e32 v14, v12
	v_mov_b32_e32 v15, v11
	v_pk_add_f32 v[8:9], v[14:15], v[8:9]
	v_pk_mul_f32 v[14:15], v[56:57], s[16:17] op_sel_hi:[1,0]
	v_mov_b32_e32 v6, v61
	v_pk_fma_f32 v[16:17], v[52:53], s[14:15], v[14:15] op_sel:[0,0,1] op_sel_hi:[1,0,0] neg_lo:[0,0,1] neg_hi:[0,0,1]
	v_pk_fma_f32 v[14:15], v[52:53], s[14:15], v[14:15] op_sel:[0,0,1] op_sel_hi:[1,0,0]
	v_mov_b32_e32 v18, v16
	v_mov_b32_e32 v19, v15
	v_pk_mul_f32 v[6:7], v[6:7], s[40:41] op_sel_hi:[1,0]
	v_pk_add_f32 v[8:9], v[18:19], v[8:9]
	v_pk_fma_f32 v[18:19], v[58:59], s[24:25], v[6:7] op_sel_hi:[1,0,1] neg_lo:[0,0,1] neg_hi:[0,0,1]
	v_pk_fma_f32 v[6:7], v[58:59], s[24:25], v[6:7] op_sel_hi:[1,0,1]
	v_mov_b32_e32 v24, v125
	v_mov_b32_e32 v25, v124
	v_mov_b32_e32 v20, v18
	v_mov_b32_e32 v21, v7
	v_pk_add_f32 v[8:9], v[20:21], v[8:9]
	v_pk_mul_f32 v[20:21], v[24:25], s[6:7] op_sel_hi:[1,0]
	v_mov_b32_e32 v26, v127
	v_mov_b32_e32 v27, v126
	v_pk_fma_f32 v[24:25], v[62:63], s[4:5], v[20:21] op_sel_hi:[1,0,1] neg_lo:[0,0,1] neg_hi:[0,0,1]
	v_pk_fma_f32 v[20:21], v[62:63], s[4:5], v[20:21] op_sel_hi:[1,0,1]
	v_mov_b32_e32 v3, v5
	v_mov_b32_e32 v32, v24
	v_mov_b32_e32 v33, v21
	v_pk_mul_f32 v[26:27], v[26:27], s[28:29] op_sel_hi:[1,0]
	v_pk_add_f32 v[0:1], v[2:3], v[0:1]
	v_mov_b32_e32 v11, v13
	v_mov_b32_e32 v28, v129
	;; [unrolled: 1-line block ×3, first 2 shown]
	v_pk_add_f32 v[8:9], v[32:33], v[8:9]
	v_pk_fma_f32 v[32:33], v[70:71], s[26:27], v[26:27] op_sel_hi:[1,0,1] neg_lo:[0,0,1] neg_hi:[0,0,1]
	v_pk_fma_f32 v[26:27], v[70:71], s[26:27], v[26:27] op_sel_hi:[1,0,1]
	v_pk_add_f32 v[0:1], v[10:11], v[0:1]
	v_mov_b32_e32 v15, v17
	v_mov_b32_e32 v34, v32
	v_mov_b32_e32 v35, v27
	v_pk_mul_f32 v[28:29], v[28:29], s[36:37] op_sel_hi:[1,0]
	v_pk_add_f32 v[0:1], v[14:15], v[0:1]
	v_mov_b32_e32 v7, v19
	v_mov_b32_e32 v30, v177
	;; [unrolled: 1-line block ×3, first 2 shown]
	v_pk_add_f32 v[8:9], v[34:35], v[8:9]
	v_pk_fma_f32 v[34:35], v[72:73], s[10:11], v[28:29] op_sel_hi:[1,0,1] neg_lo:[0,0,1] neg_hi:[0,0,1]
	v_pk_fma_f32 v[28:29], v[72:73], s[10:11], v[28:29] op_sel_hi:[1,0,1]
	v_pk_add_f32 v[0:1], v[6:7], v[0:1]
	v_mov_b32_e32 v21, v25
	v_mov_b32_e32 v40, v34
	;; [unrolled: 1-line block ×3, first 2 shown]
	v_pk_mul_f32 v[30:31], v[30:31], s[20:21] op_sel_hi:[1,0]
	v_pk_add_f32 v[0:1], v[20:21], v[0:1]
	v_mov_b32_e32 v27, v33
	v_pk_add_f32 v[8:9], v[40:41], v[8:9]
	v_pk_fma_f32 v[40:41], v[102:103], s[18:19], v[30:31] op_sel_hi:[1,0,1] neg_lo:[0,0,1] neg_hi:[0,0,1]
	v_pk_fma_f32 v[30:31], v[102:103], s[18:19], v[30:31] op_sel_hi:[1,0,1]
	v_pk_add_f32 v[0:1], v[26:27], v[0:1]
	v_mov_b32_e32 v29, v35
	v_mov_b32_e32 v42, v40
	;; [unrolled: 1-line block ×3, first 2 shown]
	v_pk_add_f32 v[0:1], v[28:29], v[0:1]
	v_mov_b32_e32 v31, v41
	v_pk_add_f32 v[8:9], v[42:43], v[8:9]
	v_pk_add_f32 v[0:1], v[30:31], v[0:1]
	ds_write2_b64 v60, v[8:9], v[0:1] offset0:8 offset1:9
	ds_write2_b64 v60, v[36:37], v[38:39] offset0:10 offset1:11
	v_accvgpr_read_b32 v0, a10
	v_accvgpr_read_b32 v2, a12
	;; [unrolled: 1-line block ×4, first 2 shown]
	ds_write2_b64 v60, v[2:3], v[0:1] offset0:12 offset1:13
	v_accvgpr_read_b32 v0, a6
	v_accvgpr_read_b32 v2, a8
	;; [unrolled: 1-line block ×4, first 2 shown]
	ds_write2_b64 v60, v[2:3], v[0:1] offset0:14 offset1:15
	ds_write_b64 v60, v[174:175] offset:128
.LBB0_7:
	s_or_b64 exec, exec, s[0:1]
	v_accvgpr_read_b32 v137, a1
	v_accvgpr_read_b32 v136, a0
	;; [unrolled: 1-line block ×3, first 2 shown]
	v_add_lshl_u32 v50, v34, v136, 3
	s_waitcnt lgkmcnt(0)
	s_barrier
	ds_read2_b64 v[12:15], v50 offset1:34
	ds_read2_b64 v[0:3], v50 offset0:136 offset1:187
	ds_read2_b64 v[16:19], v50 offset0:221 offset1:255
	;; [unrolled: 1-line block ×3, first 2 shown]
	v_add_u32_e32 v4, 0x800, v50
	ds_read2_b64 v[4:7], v4 offset0:33 offset1:67
	v_cmp_gt_u16_e64 s[0:1], 17, v136
	s_and_saveexec_b64 s[2:3], s[0:1]
	s_cbranch_execz .LBB0_9
; %bb.8:
	v_add_u32_e32 v20, 0x400, v50
	ds_read2_b64 v[36:39], v20 offset0:42 offset1:229
.LBB0_9:
	s_or_b64 exec, exec, s[2:3]
	s_movk_i32 s2, 0xffef
	s_mov_b32 s3, -1
	v_lshl_add_u64 v[20:21], v[136:137], 0, s[2:3]
	v_cndmask_b32_e64 v25, v21, 0, s[0:1]
	v_cndmask_b32_e64 v24, v20, v136, s[0:1]
	v_add_u16_e32 v23, 34, v136
	s_movk_i32 s2, 0xf1
	v_add_u16_e32 v28, 0x44, v136
	v_add_u16_e32 v31, 0x66, v136
	v_lshl_add_u64 v[20:21], v[24:25], 3, s[22:23]
	v_mul_lo_u16_sdwa v25, v23, s2 dst_sel:DWORD dst_unused:UNUSED_PAD src0_sel:BYTE_0 src1_sel:DWORD
	v_mul_lo_u16_sdwa v29, v28, s2 dst_sel:DWORD dst_unused:UNUSED_PAD src0_sel:BYTE_0 src1_sel:DWORD
	;; [unrolled: 1-line block ×3, first 2 shown]
	v_lshrrev_b16_e32 v25, 12, v25
	v_lshrrev_b16_e32 v29, 12, v29
	;; [unrolled: 1-line block ×3, first 2 shown]
	v_mul_lo_u16_e32 v26, 17, v25
	v_mul_lo_u16_e32 v30, 17, v29
	;; [unrolled: 1-line block ×3, first 2 shown]
	v_sub_u16_e32 v23, v23, v26
	v_mov_b32_e32 v26, 3
	v_sub_u16_e32 v28, v28, v30
	v_sub_u16_e32 v31, v31, v33
	v_lshlrev_b32_sdwa v27, v26, v23 dst_sel:DWORD dst_unused:UNUSED_PAD src0_sel:DWORD src1_sel:BYTE_0
	v_lshlrev_b32_sdwa v30, v26, v28 dst_sel:DWORD dst_unused:UNUSED_PAD src0_sel:DWORD src1_sel:BYTE_0
	;; [unrolled: 1-line block ×3, first 2 shown]
	global_load_dwordx2 v[60:61], v[20:21], off
	global_load_dwordx2 v[58:59], v27, s[22:23]
	global_load_dwordx2 v[56:57], v30, s[22:23]
	;; [unrolled: 1-line block ×3, first 2 shown]
	v_add_u16_e32 v20, 0xaa, v136
	v_mul_lo_u16_sdwa v21, v20, s2 dst_sel:DWORD dst_unused:UNUSED_PAD src0_sel:BYTE_0 src1_sel:DWORD
	v_lshrrev_b16_e32 v21, 12, v21
	v_mul_lo_u16_e32 v21, 17, v21
	v_sub_u16_e32 v137, v20, v21
	v_and_b32_e32 v20, 0xff, v137
	v_lshlrev_b32_e32 v21, 3, v20
	global_load_dwordx2 v[52:53], v21, s[22:23]
	v_add_u16_e32 v21, 0x88, v136
	v_mul_lo_u16_sdwa v27, v21, s2 dst_sel:DWORD dst_unused:UNUSED_PAD src0_sel:BYTE_0 src1_sel:DWORD
	v_lshrrev_b16_e32 v40, 12, v27
	v_mul_lo_u16_e32 v27, 17, v40
	v_sub_u16_e32 v21, v21, v27
	v_lshlrev_b32_sdwa v26, v26, v21 dst_sel:DWORD dst_unused:UNUSED_PAD src0_sel:DWORD src1_sel:BYTE_0
	global_load_dwordx2 v[62:63], v26, s[22:23]
	v_cmp_lt_u16_e64 s[2:3], 16, v136
	v_mul_u32_u24_e32 v27, 34, v32
	v_mad_legacy_u16 v23, v25, 34, v23
	v_cndmask_b32_e64 v26, 0, 34, s[2:3]
	v_add_u32_e32 v24, v24, v26
	v_mul_u32_u24_e32 v26, 34, v29
	v_add_lshl_u32 v148, v34, v24, 3
	v_add_u32_sdwa v24, v26, v28 dst_sel:DWORD dst_unused:UNUSED_PAD src0_sel:DWORD src1_sel:BYTE_0
	v_add_u32_sdwa v25, v27, v31 dst_sel:DWORD dst_unused:UNUSED_PAD src0_sel:DWORD src1_sel:BYTE_0
	v_add_lshl_u32 v139, v34, v24, 3
	v_add_lshl_u32 v138, v34, v25, 3
	v_and_b32_e32 v23, 0xff, v23
	v_add_lshl_u32 v149, v34, v23, 3
	s_load_dwordx4 s[4:7], s[38:39], 0x0
	s_waitcnt lgkmcnt(0)
	s_barrier
	s_waitcnt vmcnt(5)
	v_pk_mul_f32 v[24:25], v[2:3], v[60:61] op_sel:[0,1]
	s_nop 0
	v_pk_fma_f32 v[26:27], v[2:3], v[60:61], v[24:25] op_sel:[0,0,1] op_sel_hi:[1,1,0] neg_lo:[0,0,1] neg_hi:[0,0,1]
	v_pk_fma_f32 v[2:3], v[2:3], v[60:61], v[24:25] op_sel:[0,0,1] op_sel_hi:[1,0,0]
	s_waitcnt vmcnt(3)
	v_pk_mul_f32 v[24:25], v[18:19], v[56:57] op_sel:[0,1]
	v_mov_b32_e32 v27, v3
	v_pk_mul_f32 v[2:3], v[16:17], v[58:59] op_sel:[0,1]
	s_waitcnt vmcnt(2)
	v_pk_mul_f32 v[28:29], v[4:5], v[54:55] op_sel:[0,1]
	v_pk_fma_f32 v[32:33], v[16:17], v[58:59], v[2:3] op_sel:[0,0,1] op_sel_hi:[1,1,0] neg_lo:[0,0,1] neg_hi:[0,0,1]
	v_pk_fma_f32 v[2:3], v[16:17], v[58:59], v[2:3] op_sel:[0,0,1] op_sel_hi:[1,0,0]
	v_pk_add_f32 v[26:27], v[12:13], v[26:27] neg_lo:[0,1] neg_hi:[0,1]
	v_pk_fma_f32 v[16:17], v[18:19], v[56:57], v[24:25] op_sel:[0,0,1] op_sel_hi:[1,1,0] neg_lo:[0,0,1] neg_hi:[0,0,1]
	v_pk_fma_f32 v[18:19], v[18:19], v[56:57], v[24:25] op_sel:[0,0,1] op_sel_hi:[1,0,0]
	v_mov_b32_e32 v33, v3
	v_pk_fma_f32 v[34:35], v[4:5], v[54:55], v[28:29] op_sel:[0,0,1] op_sel_hi:[1,1,0] neg_lo:[0,0,1] neg_hi:[0,0,1]
	v_pk_fma_f32 v[4:5], v[4:5], v[54:55], v[28:29] op_sel:[0,0,1] op_sel_hi:[1,0,0]
	v_pk_fma_f32 v[12:13], v[12:13], 2.0, v[26:27] op_sel_hi:[1,0,1] neg_lo:[0,0,1] neg_hi:[0,0,1]
	v_mov_b32_e32 v17, v19
	v_pk_add_f32 v[2:3], v[14:15], v[32:33] neg_lo:[0,1] neg_hi:[0,1]
	v_mov_b32_e32 v35, v5
	ds_write2_b64 v148, v[12:13], v[26:27] offset1:17
	v_pk_add_f32 v[4:5], v[8:9], v[16:17] neg_lo:[0,1] neg_hi:[0,1]
	v_pk_fma_f32 v[12:13], v[14:15], 2.0, v[2:3] op_sel_hi:[1,0,1] neg_lo:[0,0,1] neg_hi:[0,0,1]
	v_pk_fma_f32 v[8:9], v[8:9], 2.0, v[4:5] op_sel_hi:[1,0,1] neg_lo:[0,0,1] neg_hi:[0,0,1]
	ds_write2_b64 v149, v[12:13], v[2:3] offset1:17
	ds_write2_b64 v139, v[8:9], v[4:5] offset1:17
	v_pk_add_f32 v[2:3], v[10:11], v[34:35] neg_lo:[0,1] neg_hi:[0,1]
	v_accvgpr_read_b32 v8, a5
	v_pk_fma_f32 v[4:5], v[10:11], 2.0, v[2:3] op_sel_hi:[1,0,1] neg_lo:[0,0,1] neg_hi:[0,0,1]
	ds_write2_b64 v138, v[4:5], v[2:3] offset1:17
	v_mul_u32_u24_e32 v2, 34, v40
	v_add_u32_sdwa v2, v2, v21 dst_sel:DWORD dst_unused:UNUSED_PAD src0_sel:DWORD src1_sel:BYTE_0
	v_add_lshl_u32 v150, v8, v2, 3
	s_waitcnt vmcnt(0)
	v_pk_mul_f32 v[2:3], v[6:7], v[62:63] op_sel:[0,1]
	v_pk_mul_f32 v[30:31], v[38:39], v[52:53] op_sel:[1,0]
	v_pk_fma_f32 v[4:5], v[6:7], v[62:63], v[2:3] op_sel:[0,0,1] op_sel_hi:[1,1,0] neg_lo:[0,0,1] neg_hi:[0,0,1]
	v_pk_fma_f32 v[2:3], v[6:7], v[62:63], v[2:3] op_sel:[0,0,1] op_sel_hi:[1,0,0]
	v_pk_fma_f32 v[24:25], v[38:39], v[52:53], v[30:31] op_sel:[0,0,1] op_sel_hi:[1,1,0] neg_lo:[0,0,1] neg_hi:[0,0,1]
	v_pk_fma_f32 v[28:29], v[38:39], v[52:53], v[30:31] op_sel:[0,0,1] op_sel_hi:[0,1,0]
	v_mov_b32_e32 v5, v3
	v_mov_b32_e32 v25, v29
	v_pk_add_f32 v[2:3], v[0:1], v[4:5] neg_lo:[0,1] neg_hi:[0,1]
	v_pk_add_f32 v[24:25], v[36:37], v[24:25] neg_lo:[0,1] neg_hi:[0,1]
	v_pk_fma_f32 v[0:1], v[0:1], 2.0, v[2:3] op_sel_hi:[1,0,1] neg_lo:[0,0,1] neg_hi:[0,0,1]
	ds_write2_b64 v150, v[0:1], v[2:3] offset1:17
	s_mov_b64 s[2:3], exec
	v_accvgpr_read_b32 v203, a7
	v_accvgpr_read_b32 v205, a9
	;; [unrolled: 1-line block ×4, first 2 shown]
	s_and_b64 s[10:11], s[2:3], s[0:1]
	v_accvgpr_read_b32 v202, a6
	v_accvgpr_read_b32 v204, a8
	v_mov_b64_e32 v[208:209], v[174:175]
	v_accvgpr_read_b32 v210, a10
	v_accvgpr_read_b32 v212, a12
	s_mov_b64 exec, s[10:11]
	s_cbranch_execz .LBB0_11
; %bb.10:
	v_add_lshl_u32 v2, v8, v20, 3
	v_pk_fma_f32 v[0:1], v[36:37], 2.0, v[24:25] op_sel_hi:[1,0,1] neg_lo:[0,0,1] neg_hi:[0,0,1]
	v_add_u32_e32 v2, 0x800, v2
	ds_write2_b64 v2, v[0:1], v[24:25] offset0:84 offset1:101
.LBB0_11:
	s_or_b64 exec, exec, s[2:3]
	s_movk_i32 s2, 0x50
	v_mov_b64_e32 v[0:1], s[22:23]
	v_mad_u64_u32 v[20:21], s[2:3], v136, s2, v[0:1]
	s_waitcnt lgkmcnt(0)
	s_barrier
	global_load_dwordx4 v[0:3], v[20:21], off offset:136
	global_load_dwordx4 v[12:15], v[20:21], off offset:152
	;; [unrolled: 1-line block ×5, first 2 shown]
	ds_read2_b64 v[26:29], v50 offset1:34
	ds_read2_b64 v[30:33], v50 offset0:68 offset1:102
	ds_read_b64 v[20:21], v50 offset:1088
	ds_read2_b64 v[34:37], v50 offset0:170 offset1:204
	v_add_u32_e32 v23, 0x400, v50
	v_add_u32_e32 v42, 0x800, v50
	ds_read2_b64 v[38:41], v23 offset0:110 offset1:144
	ds_read2_b64 v[42:45], v42 offset0:50 offset1:84
	s_waitcnt lgkmcnt(5)
	v_mov_b32_e32 v46, v27
	s_mov_b32 s2, 0xbf7d64f0
	s_mov_b32 s3, 0xbe11bafb
	s_mov_b32 s16, 0xbe903f40
	s_mov_b32 s20, 0xbf0a6770
	s_mov_b32 s14, s3
	s_mov_b32 s15, s2
	s_mov_b32 s17, 0xbf75a155
	s_mov_b32 s21, 0x3f575c64
	s_mov_b32 s36, 0x3e903f40
	s_mov_b32 s10, 0xbf4178ce
	s_mov_b32 s30, s21
	s_mov_b32 s31, s20
	s_mov_b32 s40, s17
	s_mov_b32 s41, s36
	s_mov_b32 s11, 0xbf27a4f4
	s_mov_b32 s37, s17
	s_mov_b32 s22, s11
	s_mov_b32 s23, s10
	s_mov_b32 s19, 0x3ed4b147
	s_mov_b32 s18, 0xbf68dda4
	s_mov_b32 s26, 0x3f7d64f0
	s_mov_b32 s38, s19
	s_mov_b32 s39, s18
	s_mov_b32 s42, s3
	s_mov_b32 s43, s26
	s_mov_b32 s28, s17
	s_mov_b32 s29, s16
	s_mov_b32 s27, s3
	s_mov_b32 s24, 0x3f0a6770
	s_mov_b32 s34, s21
	s_mov_b32 s35, s24
	s_mov_b32 s25, s21
	s_waitcnt vmcnt(4)
	v_pk_mul_f32 v[64:65], v[28:29], v[0:1] op_sel:[1,0] op_sel_hi:[0,1]
	s_waitcnt lgkmcnt(4)
	v_pk_mul_f32 v[68:69], v[30:31], v[2:3] op_sel:[1,0] op_sel_hi:[0,1]
	v_mov_b32_e32 v48, v1
	s_waitcnt vmcnt(3)
	v_mov_b32_e32 v70, v13
	v_pk_mul_f32 v[72:73], v[32:33], v[12:13] op_sel:[1,0] op_sel_hi:[0,1]
	v_mov_b32_e32 v74, v15
	s_waitcnt lgkmcnt(3)
	v_pk_mul_f32 v[76:77], v[20:21], v[14:15] op_sel:[1,0] op_sel_hi:[0,1]
	s_waitcnt vmcnt(2)
	v_mov_b32_e32 v78, v9
	v_mov_b32_e32 v82, v11
	;; [unrolled: 1-line block ×6, first 2 shown]
	v_pk_mul_f32 v[48:49], v[28:29], v[48:49] op_sel:[1,0] op_sel_hi:[0,1]
	v_pk_mul_f32 v[64:65], v[32:33], v[70:71] op_sel:[1,0] op_sel_hi:[0,1]
	;; [unrolled: 1-line block ×3, first 2 shown]
	v_mov_b32_e32 v74, v72
	v_mov_b32_e32 v75, v76
	;; [unrolled: 1-line block ×3, first 2 shown]
	s_waitcnt lgkmcnt(2)
	v_pk_mul_f32 v[72:73], v[34:35], v[78:79] op_sel:[1,0] op_sel_hi:[0,1]
	v_pk_mul_f32 v[78:79], v[36:37], v[82:83] op_sel:[1,0] op_sel_hi:[0,1]
	v_pk_add_f32 v[68:69], v[100:101], v[68:69]
	v_pk_mul_f32 v[66:67], v[30:31], v[66:67] op_sel:[1,0] op_sel_hi:[0,1]
	v_pk_fma_f32 v[48:49], v[28:29], v[0:1], v[48:49] neg_lo:[0,0,1] neg_hi:[0,0,1]
	v_pk_fma_f32 v[64:65], v[32:33], v[12:13], v[64:65] neg_lo:[0,0,1] neg_hi:[0,0,1]
	;; [unrolled: 1-line block ×3, first 2 shown]
	v_pk_add_f32 v[46:47], v[46:47], v[68:69]
	v_mov_b32_e32 v78, v69
	v_pk_mul_f32 v[80:81], v[34:35], v[8:9] op_sel:[1,0] op_sel_hi:[0,1]
	v_pk_mul_f32 v[84:85], v[36:37], v[10:11] op_sel:[1,0] op_sel_hi:[0,1]
	v_pk_fma_f32 v[66:67], v[30:31], v[2:3], v[66:67] neg_lo:[0,0,1] neg_hi:[0,0,1]
	v_pk_add_f32 v[100:101], v[74:75], v[76:77]
	v_pk_add_f32 v[74:75], v[26:27], v[48:49]
	;; [unrolled: 1-line block ×3, first 2 shown]
	v_mov_b32_e32 v82, v80
	v_mov_b32_e32 v83, v84
	;; [unrolled: 1-line block ×3, first 2 shown]
	v_pk_add_f32 v[74:75], v[74:75], v[66:67]
	v_pk_add_f32 v[46:47], v[46:47], v[100:101]
	v_mov_b32_e32 v78, v101
	s_waitcnt vmcnt(1)
	v_mov_b32_e32 v86, v5
	s_waitcnt lgkmcnt(1)
	v_pk_mul_f32 v[88:89], v[38:39], v[4:5] op_sel:[1,0] op_sel_hi:[0,1]
	v_mov_b32_e32 v90, v7
	v_pk_mul_f32 v[92:93], v[40:41], v[6:7] op_sel:[1,0] op_sel_hi:[0,1]
	v_pk_fma_f32 v[20:21], v[20:21], v[14:15], v[70:71] neg_lo:[0,0,1] neg_hi:[0,0,1]
	v_pk_add_f32 v[28:29], v[82:83], v[84:85]
	v_pk_add_f32 v[74:75], v[74:75], v[64:65]
	;; [unrolled: 1-line block ×3, first 2 shown]
	v_pk_mul_f32 v[80:81], v[38:39], v[86:87] op_sel:[1,0] op_sel_hi:[0,1]
	v_pk_mul_f32 v[86:87], v[40:41], v[90:91] op_sel:[1,0] op_sel_hi:[0,1]
	v_mov_b32_e32 v90, v88
	v_mov_b32_e32 v91, v92
	;; [unrolled: 1-line block ×3, first 2 shown]
	v_pk_fma_f32 v[30:31], v[34:35], v[8:9], v[72:73] neg_lo:[0,0,1] neg_hi:[0,0,1]
	v_pk_add_f32 v[74:75], v[74:75], v[20:21]
	v_pk_add_f32 v[46:47], v[46:47], v[28:29]
	v_mov_b32_e32 v78, v29
	s_waitcnt vmcnt(0) lgkmcnt(0)
	v_pk_mul_f32 v[96:97], v[42:43], v[16:17] op_sel:[1,0] op_sel_hi:[0,1]
	v_pk_fma_f32 v[34:35], v[38:39], v[4:5], v[80:81] neg_lo:[0,0,1] neg_hi:[0,0,1]
	v_pk_fma_f32 v[38:39], v[40:41], v[6:7], v[86:87] neg_lo:[0,0,1] neg_hi:[0,0,1]
	v_pk_add_f32 v[40:41], v[90:91], v[92:93]
	v_pk_add_f32 v[74:75], v[74:75], v[30:31]
	;; [unrolled: 1-line block ×3, first 2 shown]
	v_mov_b32_e32 v94, v17
	v_mov_b32_e32 v96, v19
	v_pk_add_f32 v[74:75], v[74:75], v[32:33]
	v_pk_add_f32 v[46:47], v[46:47], v[40:41]
	v_pk_mul_f32 v[98:99], v[44:45], v[18:19] op_sel:[1,0] op_sel_hi:[0,1]
	v_pk_mul_f32 v[88:89], v[42:43], v[94:95] op_sel:[1,0] op_sel_hi:[0,1]
	v_mov_b32_e32 v94, v97
	v_pk_mul_f32 v[96:97], v[44:45], v[96:97] op_sel:[1,0] op_sel_hi:[0,1]
	v_pk_add_f32 v[74:75], v[74:75], v[34:35]
	v_mov_b32_e32 v23, v46
	v_mov_b32_e32 v98, v99
	v_pk_fma_f32 v[76:77], v[42:43], v[16:17], v[88:89] neg_lo:[0,0,1] neg_hi:[0,0,1]
	v_pk_fma_f32 v[42:43], v[42:43], v[16:17], v[94:95] op_sel:[1,0,0] op_sel_hi:[0,1,1]
	v_pk_fma_f32 v[36:37], v[44:45], v[18:19], v[96:97] neg_lo:[0,0,1] neg_hi:[0,0,1]
	v_pk_add_f32 v[74:75], v[74:75], v[38:39]
	v_pk_add_f32 v[46:47], v[22:23], v[40:41]
	v_pk_fma_f32 v[44:45], v[44:45], v[18:19], v[98:99] op_sel:[1,0,0] op_sel_hi:[0,1,1]
	v_mov_b32_e32 v70, v76
	v_mov_b32_e32 v71, v42
	v_mov_b32_e32 v72, v36
	v_mov_b32_e32 v75, v47
	v_pk_add_f32 v[78:79], v[48:49], v[36:37]
	v_pk_add_f32 v[36:37], v[48:49], v[36:37] neg_lo:[0,1] neg_hi:[0,1]
	v_mov_b32_e32 v73, v44
	v_pk_add_f32 v[46:47], v[74:75], v[70:71]
	v_mov_b32_e32 v79, v36
	v_pk_add_f32 v[48:49], v[68:69], v[44:45] neg_lo:[0,1] neg_hi:[0,1]
	v_pk_add_f32 v[36:37], v[68:69], v[44:45]
	v_pk_add_f32 v[90:91], v[66:67], v[76:77]
	v_pk_add_f32 v[66:67], v[66:67], v[76:77] neg_lo:[0,1] neg_hi:[0,1]
	v_pk_add_f32 v[70:71], v[46:47], v[72:73]
	v_mov_b32_e32 v46, v48
	v_mov_b32_e32 v47, v36
	v_pk_mul_f32 v[80:81], v[78:79], s[14:15]
	v_mov_b32_e32 v91, v66
	v_pk_add_f32 v[66:67], v[68:69], v[42:43] op_sel:[1,0] neg_lo:[0,1] neg_hi:[0,1]
	v_pk_add_f32 v[76:77], v[68:69], v[42:43] op_sel_hi:[1,0]
	v_pk_fma_f32 v[36:37], v[48:49], s[2:3], v[80:81] neg_lo:[1,0,0] neg_hi:[1,0,0]
	v_pk_fma_f32 v[82:83], v[46:47], s[2:3], v[80:81]
	v_mov_b32_e32 v76, v66
	v_pk_mul_f32 v[42:43], v[78:79], s[30:31]
	v_pk_mul_f32 v[98:99], v[90:91], s[40:41]
	v_mov_b32_e32 v37, v83
	v_pk_fma_f32 v[68:69], v[48:49], s[20:21], v[42:43] neg_lo:[1,0,0] neg_hi:[1,0,0]
	v_pk_fma_f32 v[92:93], v[46:47], s[20:21], v[42:43]
	v_pk_fma_f32 v[42:43], v[46:47], s[20:21], v[42:43] neg_lo:[0,0,1] neg_hi:[0,0,1]
	v_pk_fma_f32 v[102:103], v[66:67], s[36:37], v[98:99] neg_lo:[1,0,0] neg_hi:[1,0,0]
	v_pk_fma_f32 v[104:105], v[76:77], s[36:37], v[98:99]
	v_pk_add_f32 v[84:85], v[26:27], v[36:37]
	v_pk_mul_f32 v[44:45], v[78:79], s[22:23]
	v_mov_b32_e32 v69, v93
	v_mov_b32_e32 v93, v43
	;; [unrolled: 1-line block ×3, first 2 shown]
	v_pk_fma_f32 v[72:73], v[48:49], s[10:11], v[44:45] neg_lo:[1,0,0] neg_hi:[1,0,0]
	v_pk_fma_f32 v[36:37], v[46:47], s[10:11], v[44:45]
	v_pk_add_f32 v[42:43], v[26:27], v[92:93]
	v_pk_mul_f32 v[92:93], v[90:91], s[38:39]
	v_pk_add_f32 v[84:85], v[102:103], v[84:85]
	v_pk_mul_f32 v[102:103], v[90:91], s[42:43]
	v_mov_b32_e32 v73, v37
	v_pk_mul_f32 v[74:75], v[78:79], s[28:29]
	v_pk_fma_f32 v[94:95], v[66:67], s[18:19], v[92:93] neg_lo:[1,0,0] neg_hi:[1,0,0]
	v_pk_fma_f32 v[96:97], v[76:77], s[18:19], v[92:93]
	v_pk_fma_f32 v[92:93], v[76:77], s[18:19], v[92:93] neg_lo:[0,0,1] neg_hi:[0,0,1]
	v_pk_fma_f32 v[106:107], v[66:67], s[26:27], v[102:103] neg_lo:[1,0,0] neg_hi:[1,0,0]
	v_pk_fma_f32 v[108:109], v[76:77], s[26:27], v[102:103]
	v_pk_add_f32 v[86:87], v[26:27], v[72:73]
	v_pk_fma_f32 v[88:89], v[48:49], s[16:17], v[74:75] neg_lo:[1,0,0] neg_hi:[1,0,0]
	v_pk_fma_f32 v[72:73], v[46:47], s[16:17], v[74:75]
	v_pk_add_f32 v[68:69], v[26:27], v[68:69]
	v_mov_b32_e32 v95, v97
	v_mov_b32_e32 v97, v93
	v_pk_mul_f32 v[92:93], v[90:91], s[22:23]
	v_mov_b32_e32 v107, v109
	v_pk_mul_f32 v[90:91], v[90:91], s[34:35]
	v_mov_b32_e32 v89, v73
	v_pk_add_f32 v[68:69], v[94:95], v[68:69]
	v_pk_fma_f32 v[94:95], v[66:67], s[10:11], v[92:93] neg_lo:[1,0,0] neg_hi:[1,0,0]
	v_pk_add_f32 v[86:87], v[106:107], v[86:87]
	v_pk_fma_f32 v[66:67], v[66:67], s[24:25], v[90:91] neg_lo:[1,0,0] neg_hi:[1,0,0]
	v_pk_fma_f32 v[106:107], v[76:77], s[24:25], v[90:91]
	v_pk_add_f32 v[88:89], v[26:27], v[88:89]
	v_mov_b32_e32 v67, v107
	v_pk_add_f32 v[66:67], v[66:67], v[88:89]
	v_pk_add_f32 v[88:89], v[64:65], v[38:39]
	v_pk_add_f32 v[38:39], v[64:65], v[38:39] neg_lo:[0,1] neg_hi:[0,1]
	v_pk_add_f32 v[64:65], v[100:101], v[40:41] op_sel_hi:[0,1]
	v_mov_b32_e32 v89, v38
	v_pk_add_f32 v[38:39], v[100:101], v[40:41] op_sel:[0,1] neg_lo:[0,1] neg_hi:[0,1]
	v_pk_mul_f32 v[110:111], v[88:89], s[14:15]
	v_mov_b32_e32 v64, v38
	v_pk_fma_f32 v[112:113], v[38:39], s[2:3], v[110:111] neg_lo:[1,0,0] neg_hi:[1,0,0]
	v_pk_fma_f32 v[114:115], v[64:65], s[2:3], v[110:111]
	v_pk_mul_f32 v[78:79], v[78:79], s[38:39]
	v_mov_b32_e32 v113, v115
	v_pk_add_f32 v[42:43], v[96:97], v[42:43]
	v_pk_fma_f32 v[96:97], v[76:77], s[10:11], v[92:93]
	v_pk_add_f32 v[68:69], v[112:113], v[68:69]
	v_pk_mul_f32 v[112:113], v[88:89], s[40:41]
	v_pk_fma_f32 v[48:49], v[48:49], s[18:19], v[78:79] neg_lo:[1,0,0] neg_hi:[1,0,0]
	v_pk_fma_f32 v[120:121], v[46:47], s[18:19], v[78:79]
	v_pk_fma_f32 v[78:79], v[46:47], s[18:19], v[78:79] neg_lo:[0,0,1] neg_hi:[0,0,1]
	v_pk_fma_f32 v[92:93], v[76:77], s[10:11], v[92:93] neg_lo:[0,0,1] neg_hi:[0,0,1]
	s_mov_b32 s18, 0x3f68dda4
	v_mov_b32_e32 v95, v97
	v_pk_fma_f32 v[116:117], v[38:39], s[36:37], v[112:113] neg_lo:[1,0,0] neg_hi:[1,0,0]
	v_pk_fma_f32 v[118:119], v[64:65], s[36:37], v[112:113]
	v_mov_b32_e32 v49, v121
	v_mov_b32_e32 v121, v79
	;; [unrolled: 1-line block ×3, first 2 shown]
	v_pk_fma_f32 v[92:93], v[64:65], s[36:37], v[112:113] neg_lo:[0,0,1] neg_hi:[0,0,1]
	s_mov_b32 s39, s18
	v_mov_b32_e32 v117, v119
	v_pk_add_f32 v[48:49], v[26:27], v[48:49]
	v_pk_add_f32 v[78:79], v[26:27], v[120:121]
	v_mov_b32_e32 v119, v93
	v_pk_mul_f32 v[92:93], v[88:89], s[38:39]
	v_pk_add_f32 v[48:49], v[94:95], v[48:49]
	v_pk_add_f32 v[78:79], v[96:97], v[78:79]
	v_pk_fma_f32 v[94:95], v[38:39], s[18:19], v[92:93] neg_lo:[1,0,0] neg_hi:[1,0,0]
	v_pk_fma_f32 v[96:97], v[64:65], s[18:19], v[92:93]
	v_pk_add_f32 v[48:49], v[116:117], v[48:49]
	v_mov_b32_e32 v95, v97
	v_pk_add_f32 v[84:85], v[94:95], v[84:85]
	v_pk_mul_f32 v[94:95], v[88:89], s[30:31]
	v_pk_mul_f32 v[88:89], v[88:89], s[22:23]
	v_pk_fma_f32 v[112:113], v[38:39], s[20:21], v[94:95] neg_lo:[1,0,0] neg_hi:[1,0,0]
	v_pk_fma_f32 v[116:117], v[64:65], s[20:21], v[94:95]
	v_pk_fma_f32 v[38:39], v[38:39], s[10:11], v[88:89] neg_lo:[1,0,0] neg_hi:[1,0,0]
	v_mov_b32_e32 v113, v117
	v_pk_add_f32 v[86:87], v[112:113], v[86:87]
	v_pk_fma_f32 v[112:113], v[64:65], s[10:11], v[88:89]
	v_pk_add_f32 v[78:79], v[118:119], v[78:79]
	v_mov_b32_e32 v39, v113
	v_pk_add_f32 v[38:39], v[38:39], v[66:67]
	v_pk_add_f32 v[66:67], v[20:21], v[34:35]
	v_pk_add_f32 v[20:21], v[20:21], v[34:35] neg_lo:[0,1] neg_hi:[0,1]
	v_pk_fma_f32 v[80:81], v[46:47], s[2:3], v[80:81] neg_lo:[0,0,1] neg_hi:[0,0,1]
	v_mov_b32_e32 v67, v20
	v_pk_add_f32 v[20:21], v[100:101], v[40:41] op_sel:[1,0] neg_lo:[0,1] neg_hi:[0,1]
	v_pk_add_f32 v[100:101], v[100:101], v[40:41] op_sel_hi:[1,0]
	v_pk_mul_f32 v[34:35], v[66:67], s[22:23]
	v_mov_b32_e32 v100, v20
	v_pk_fma_f32 v[40:41], v[20:21], s[10:11], v[34:35] neg_lo:[1,0,0] neg_hi:[1,0,0]
	v_pk_fma_f32 v[118:119], v[100:101], s[10:11], v[34:35]
	v_mov_b32_e32 v83, v81
	v_mov_b32_e32 v41, v119
	v_pk_add_f32 v[40:41], v[40:41], v[68:69]
	v_pk_mul_f32 v[68:69], v[66:67], s[42:43]
	v_pk_add_f32 v[80:81], v[26:27], v[82:83]
	v_pk_fma_f32 v[120:121], v[20:21], s[26:27], v[68:69] neg_lo:[1,0,0] neg_hi:[1,0,0]
	v_pk_fma_f32 v[122:123], v[100:101], s[26:27], v[68:69]
	v_pk_fma_f32 v[82:83], v[76:77], s[36:37], v[98:99] neg_lo:[0,0,1] neg_hi:[0,0,1]
	v_mov_b32_e32 v121, v123
	v_pk_add_f32 v[48:49], v[120:121], v[48:49]
	v_pk_mul_f32 v[120:121], v[66:67], s[30:31]
	v_mov_b32_e32 v105, v83
	v_pk_fma_f32 v[82:83], v[64:65], s[18:19], v[92:93] neg_lo:[0,0,1] neg_hi:[0,0,1]
	v_pk_fma_f32 v[124:125], v[20:21], s[20:21], v[120:121] neg_lo:[1,0,0] neg_hi:[1,0,0]
	v_pk_fma_f32 v[126:127], v[100:101], s[20:21], v[120:121]
	v_mov_b32_e32 v97, v83
	v_pk_fma_f32 v[82:83], v[100:101], s[20:21], v[120:121] neg_lo:[0,0,1] neg_hi:[0,0,1]
	v_mov_b32_e32 v125, v127
	v_pk_add_f32 v[80:81], v[104:105], v[80:81]
	v_mov_b32_e32 v127, v83
	v_pk_mul_f32 v[82:83], v[66:67], s[28:29]
	v_pk_add_f32 v[80:81], v[96:97], v[80:81]
	v_pk_fma_f32 v[92:93], v[20:21], s[16:17], v[82:83] neg_lo:[1,0,0] neg_hi:[1,0,0]
	v_pk_fma_f32 v[96:97], v[100:101], s[16:17], v[82:83]
	v_pk_mul_f32 v[66:67], v[66:67], s[38:39]
	v_mov_b32_e32 v93, v97
	v_pk_add_f32 v[86:87], v[92:93], v[86:87]
	v_pk_fma_f32 v[20:21], v[20:21], s[18:19], v[66:67] neg_lo:[1,0,0] neg_hi:[1,0,0]
	v_pk_fma_f32 v[92:93], v[100:101], s[18:19], v[66:67]
	v_pk_add_f32 v[98:99], v[30:31], v[32:33]
	v_mov_b32_e32 v21, v93
	v_pk_add_f32 v[20:21], v[20:21], v[38:39]
	v_pk_add_f32 v[38:39], v[30:31], v[32:33] neg_lo:[0,1] neg_hi:[0,1]
	v_pk_add_f32 v[104:105], v[28:29], v[28:29] op_sel:[0,1] neg_lo:[0,1] neg_hi:[0,1]
	v_mov_b32_e32 v99, v38
	v_pk_add_f32 v[120:121], v[28:29], v[28:29] op_sel_hi:[0,1]
	v_mov_b32_e32 v120, v104
	v_pk_mul_f32 v[28:29], v[98:99], s[34:35]
	v_pk_add_f32 v[84:85], v[124:125], v[84:85]
	v_pk_fma_f32 v[30:31], v[104:105], s[24:25], v[28:29] neg_lo:[1,0,0] neg_hi:[1,0,0]
	v_pk_fma_f32 v[124:125], v[120:121], s[24:25], v[28:29]
	v_pk_fma_f32 v[110:111], v[64:65], s[2:3], v[110:111] neg_lo:[0,0,1] neg_hi:[0,0,1]
	v_mov_b32_e32 v31, v125
	v_pk_add_f32 v[30:31], v[30:31], v[48:49]
	v_pk_fma_f32 v[48:49], v[120:121], s[24:25], v[28:29] neg_lo:[0,0,1] neg_hi:[0,0,1]
	v_pk_mul_f32 v[28:29], v[98:99], s[22:23]
	v_pk_add_f32 v[80:81], v[126:127], v[80:81]
	v_pk_fma_f32 v[32:33], v[104:105], s[10:11], v[28:29] neg_lo:[1,0,0] neg_hi:[1,0,0]
	v_pk_fma_f32 v[126:127], v[120:121], s[10:11], v[28:29]
	v_pk_fma_f32 v[34:35], v[100:101], s[10:11], v[34:35] neg_lo:[0,0,1] neg_hi:[0,0,1]
	v_mov_b32_e32 v33, v127
	v_mov_b32_e32 v115, v111
	v_pk_add_f32 v[32:33], v[32:33], v[84:85]
	v_pk_fma_f32 v[84:85], v[120:121], s[10:11], v[28:29] neg_lo:[0,0,1] neg_hi:[0,0,1]
	v_pk_add_f32 v[28:29], v[114:115], v[42:43]
	v_mov_b32_e32 v119, v35
	v_mov_b32_e32 v42, v104
	;; [unrolled: 1-line block ×3, first 2 shown]
	v_pk_fma_f32 v[44:45], v[46:47], s[10:11], v[44:45] neg_lo:[0,0,1] neg_hi:[0,0,1]
	v_pk_fma_f32 v[68:69], v[100:101], s[26:27], v[68:69] neg_lo:[0,0,1] neg_hi:[0,0,1]
	v_pk_add_f32 v[34:35], v[118:119], v[28:29]
	v_mov_b32_e32 v28, v98
	v_mov_b32_e32 v29, v121
	s_mov_b32 s22, s17
	v_pk_mul_f32 v[38:39], v[42:43], s[16:17] op_sel_hi:[1,0]
	v_mov_b32_e32 v37, v45
	v_pk_fma_f32 v[44:45], v[76:77], s[26:27], v[102:103] neg_lo:[0,0,1] neg_hi:[0,0,1]
	v_mov_b32_e32 v123, v69
	v_pk_fma_f32 v[42:43], v[28:29], s[22:23], v[38:39] op_sel_hi:[1,0,1] neg_lo:[0,0,1] neg_hi:[0,0,1]
	v_pk_fma_f32 v[38:39], v[28:29], s[22:23], v[38:39] op_sel_hi:[1,0,1]
	v_pk_add_f32 v[36:37], v[26:27], v[36:37]
	v_mov_b32_e32 v109, v45
	v_pk_fma_f32 v[44:45], v[64:65], s[20:21], v[94:95] neg_lo:[0,0,1] neg_hi:[0,0,1]
	v_pk_add_f32 v[68:69], v[122:123], v[78:79]
	v_mov_b32_e32 v28, v42
	v_mov_b32_e32 v29, v39
	;; [unrolled: 1-line block ×4, first 2 shown]
	v_pk_mul_f32 v[48:49], v[98:99], s[38:39]
	v_pk_add_f32 v[36:37], v[108:109], v[36:37]
	v_mov_b32_e32 v117, v45
	v_pk_fma_f32 v[44:45], v[100:101], s[16:17], v[82:83] neg_lo:[0,0,1] neg_hi:[0,0,1]
	v_pk_add_f32 v[28:29], v[28:29], v[40:41]
	v_pk_add_f32 v[42:43], v[38:39], v[34:35]
	;; [unrolled: 1-line block ×3, first 2 shown]
	v_pk_fma_f32 v[34:35], v[104:105], s[18:19], v[48:49] neg_lo:[1,0,0] neg_hi:[1,0,0]
	v_pk_fma_f32 v[68:69], v[120:121], s[18:19], v[48:49]
	v_pk_add_f32 v[36:37], v[116:117], v[36:37]
	v_mov_b32_e32 v97, v45
	v_pk_fma_f32 v[44:45], v[120:121], s[18:19], v[48:49] neg_lo:[0,0,1] neg_hi:[0,0,1]
	v_mov_b32_e32 v35, v69
	v_pk_add_f32 v[36:37], v[96:97], v[36:37]
	v_mov_b32_e32 v69, v45
	v_pk_mul_f32 v[48:49], v[98:99], s[14:15]
	v_pk_add_f32 v[36:37], v[68:69], v[36:37]
	v_pk_fma_f32 v[44:45], v[104:105], s[2:3], v[48:49] neg_lo:[1,0,0] neg_hi:[1,0,0]
	v_pk_fma_f32 v[68:69], v[120:121], s[2:3], v[48:49]
	v_mov_b32_e32 v127, v85
	v_mov_b32_e32 v45, v69
	v_pk_add_f32 v[44:45], v[44:45], v[20:21]
	v_pk_fma_f32 v[20:21], v[46:47], s[16:17], v[74:75] neg_lo:[0,0,1] neg_hi:[0,0,1]
	v_pk_add_f32 v[38:39], v[126:127], v[80:81]
	v_mov_b32_e32 v73, v21
	v_pk_add_f32 v[20:21], v[26:27], v[72:73]
	v_pk_fma_f32 v[26:27], v[76:77], s[24:25], v[90:91] neg_lo:[0,0,1] neg_hi:[0,0,1]
	v_pk_add_f32 v[34:35], v[34:35], v[86:87]
	v_mov_b32_e32 v107, v27
	v_pk_fma_f32 v[26:27], v[64:65], s[10:11], v[88:89] neg_lo:[0,0,1] neg_hi:[0,0,1]
	v_pk_add_f32 v[20:21], v[106:107], v[20:21]
	v_mov_b32_e32 v113, v27
	;; [unrolled: 3-line block ×4, first 2 shown]
	v_pk_add_f32 v[46:47], v[68:69], v[20:21]
	v_accvgpr_read_b32 v20, a3
	v_lshl_add_u32 v51, v136, 3, v20
	v_add_u32_e32 v21, 0x400, v51
	v_add_u32_e32 v20, 0x800, v51
	ds_write_b64 v51, v[70:71]
	ds_write2_b64 v51, v[28:29], v[30:31] offset0:34 offset1:68
	ds_write2_b64 v51, v[32:33], v[34:35] offset0:102 offset1:136
	;; [unrolled: 1-line block ×5, first 2 shown]
	s_waitcnt lgkmcnt(0)
	s_barrier
	s_and_saveexec_b64 s[2:3], vcc
	s_cbranch_execz .LBB0_13
; %bb.12:
	v_accvgpr_read_b32 v23, a2
	global_load_dwordx2 v[26:27], v23, s[8:9] offset:2992
	s_add_u32 s10, s8, 0xbb0
	s_addc_u32 s11, s9, 0
	global_load_dwordx2 v[48:49], v23, s[10:11] offset:176
	global_load_dwordx2 v[68:69], v23, s[10:11] offset:352
	;; [unrolled: 1-line block ×14, first 2 shown]
	ds_read_b64 v[64:65], v51
	global_load_dwordx2 v[120:121], v23, s[10:11] offset:2640
	global_load_dwordx2 v[122:123], v23, s[10:11] offset:2816
	s_waitcnt vmcnt(16) lgkmcnt(0)
	v_mul_f32_e32 v23, v65, v27
	v_mul_f32_e32 v67, v64, v27
	v_fma_f32 v66, v64, v26, -v23
	v_fmac_f32_e32 v67, v65, v26
	ds_write_b64 v51, v[66:67]
	ds_read2_b64 v[64:67], v51 offset0:22 offset1:44
	ds_read2_b64 v[72:75], v51 offset0:66 offset1:88
	;; [unrolled: 1-line block ×7, first 2 shown]
	s_waitcnt vmcnt(15) lgkmcnt(6)
	v_mul_f32_e32 v23, v65, v49
	v_mul_f32_e32 v27, v64, v49
	s_waitcnt vmcnt(14)
	v_mul_f32_e32 v124, v67, v69
	v_mul_f32_e32 v49, v66, v69
	s_waitcnt vmcnt(13) lgkmcnt(5)
	v_mul_f32_e32 v125, v73, v97
	v_mul_f32_e32 v69, v72, v97
	s_waitcnt vmcnt(12)
	v_mul_f32_e32 v126, v75, v99
	v_mul_f32_e32 v97, v74, v99
	;; [unrolled: 6-line block ×6, first 2 shown]
	v_fma_f32 v26, v64, v48, -v23
	v_fmac_f32_e32 v27, v65, v48
	v_fma_f32 v48, v66, v68, -v124
	v_fmac_f32_e32 v49, v67, v68
	;; [unrolled: 2-line block ×12, first 2 shown]
	ds_write2_b64 v51, v[26:27], v[48:49] offset0:22 offset1:44
	ds_write2_b64 v51, v[68:69], v[96:97] offset0:66 offset1:88
	;; [unrolled: 1-line block ×6, first 2 shown]
	ds_read2_b64 v[64:67], v20 offset0:74 offset1:96
	s_waitcnt vmcnt(3) lgkmcnt(7)
	v_mul_f32_e32 v135, v93, v117
	v_mul_f32_e32 v115, v92, v117
	s_waitcnt vmcnt(2)
	v_mul_f32_e32 v117, v95, v119
	v_mul_f32_e32 v27, v94, v119
	v_fma_f32 v114, v92, v116, -v135
	v_fmac_f32_e32 v115, v93, v116
	v_fma_f32 v26, v94, v118, -v117
	v_fmac_f32_e32 v27, v95, v118
	s_waitcnt vmcnt(1) lgkmcnt(0)
	v_mul_f32_e32 v21, v65, v121
	ds_write2_b64 v20, v[114:115], v[26:27] offset0:30 offset1:52
	v_fma_f32 v26, v64, v120, -v21
	v_mul_f32_e32 v27, v64, v121
	s_waitcnt vmcnt(0)
	v_mul_f32_e32 v21, v67, v123
	v_mul_f32_e32 v49, v66, v123
	v_fmac_f32_e32 v27, v65, v120
	v_fma_f32 v48, v66, v122, -v21
	v_fmac_f32_e32 v49, v67, v122
	ds_write2_b64 v20, v[26:27], v[48:49] offset0:74 offset1:96
.LBB0_13:
	s_or_b64 exec, exec, s[2:3]
	s_waitcnt lgkmcnt(0)
	s_barrier
	s_and_saveexec_b64 s[2:3], vcc
	s_cbranch_execz .LBB0_15
; %bb.14:
	ds_read_b64 v[70:71], v51
	ds_read2_b64 v[28:31], v51 offset0:22 offset1:44
	ds_read2_b64 v[32:35], v51 offset0:66 offset1:88
	;; [unrolled: 1-line block ×4, first 2 shown]
	v_add_u32_e32 v20, 0x800, v51
	ds_read2_b64 v[206:209], v20 offset0:74 offset1:96
	ds_read2_b64 v[64:67], v20 offset0:30 offset1:52
	v_add_u32_e32 v20, 0x400, v51
	ds_read2_b64 v[24:27], v20 offset0:114 offset1:136
	ds_read2_b64 v[40:43], v51 offset0:198 offset1:220
	s_waitcnt lgkmcnt(3)
	v_mov_b64_e32 v[202:203], v[206:207]
	s_waitcnt lgkmcnt(2)
	v_mov_b64_e32 v[204:205], v[66:67]
	v_mov_b64_e32 v[210:211], v[64:65]
	s_waitcnt lgkmcnt(1)
	v_mov_b64_e32 v[212:213], v[26:27]
.LBB0_15:
	s_or_b64 exec, exec, s[2:3]
	v_pk_add_f32 v[48:49], v[32:33], v[204:205] neg_lo:[0,1] neg_hi:[0,1]
	v_pk_add_f32 v[104:105], v[32:33], v[204:205]
	v_mov_b32_e32 v75, v48
	v_mov_b32_e32 v74, v104
	v_mov_b32_e32 v104, v49
	v_pk_add_f32 v[48:49], v[34:35], v[210:211] neg_lo:[0,1] neg_hi:[0,1]
	v_pk_add_f32 v[102:103], v[34:35], v[210:211]
	v_mov_b32_e32 v77, v48
	v_mov_b32_e32 v76, v102
	v_mov_b32_e32 v102, v49
	;; [unrolled: 5-line block ×4, first 2 shown]
	s_waitcnt lgkmcnt(0)
	v_pk_add_f32 v[48:49], v[36:37], v[42:43] neg_lo:[0,1] neg_hi:[0,1]
	v_pk_add_f32 v[96:97], v[36:37], v[42:43]
	v_pk_add_f32 v[90:91], v[208:209], v[28:29]
	v_pk_add_f32 v[92:93], v[28:29], v[208:209] neg_lo:[0,1] neg_hi:[0,1]
	v_mov_b32_e32 v82, v96
	v_mov_b32_e32 v83, v48
	;; [unrolled: 1-line block ×3, first 2 shown]
	v_pk_add_f32 v[48:49], v[38:39], v[40:41] neg_lo:[0,1] neg_hi:[0,1]
	v_pk_add_f32 v[94:95], v[38:39], v[40:41]
	s_mov_b32 s44, 0xbf4c4adb
	v_pk_add_f32 v[20:21], v[30:31], v[202:203] neg_lo:[0,1] neg_hi:[0,1]
	v_pk_add_f32 v[88:89], v[30:31], v[202:203]
	v_mov_b32_e32 v84, v94
	v_mov_b32_e32 v85, v48
	;; [unrolled: 1-line block ×5, first 2 shown]
	s_mov_b32 s45, 0xbf1a4643
	s_mov_b32 s60, 0x3f763a35
	v_mov_b32_e32 v26, v88
	v_mov_b32_e32 v88, v21
	v_pk_mul_f32 v[144:145], v[48:49], s[44:45]
	v_mov_b32_e32 v146, v90
	v_mov_b32_e32 v147, v92
	s_mov_b32 s10, s45
	s_mov_b32 s11, s44
	;; [unrolled: 1-line block ×3, first 2 shown]
	v_mov_b32_e32 v27, v20
	v_pk_fma_f32 v[48:49], v[146:147], s[10:11], v[144:145] neg_lo:[0,0,1] neg_hi:[0,0,1]
	v_pk_fma_f32 v[140:141], v[146:147], s[10:11], v[144:145]
	v_pk_mul_f32 v[152:153], v[88:89], s[60:61]
	s_mov_b32 s16, s61
	s_mov_b32 s17, s60
	;; [unrolled: 1-line block ×3, first 2 shown]
	v_mov_b32_e32 v49, v141
	v_pk_fma_f32 v[64:65], v[26:27], s[16:17], v[152:153] neg_lo:[0,0,1] neg_hi:[0,0,1]
	v_pk_fma_f32 v[154:155], v[26:27], s[16:17], v[152:153]
	s_mov_b32 s59, 0x3f6eb680
	s_mov_b32 s34, 0xbf06c442
	v_pk_add_f32 v[48:49], v[70:71], v[48:49]
	v_mov_b32_e32 v65, v155
	v_pk_mul_f32 v[156:157], v[104:105], s[58:59]
	s_mov_b32 s22, s59
	s_mov_b32 s23, s58
	;; [unrolled: 1-line block ×3, first 2 shown]
	v_pk_add_f32 v[48:49], v[64:65], v[48:49]
	v_pk_fma_f32 v[64:65], v[74:75], s[22:23], v[156:157] neg_lo:[0,0,1] neg_hi:[0,0,1]
	v_pk_fma_f32 v[158:159], v[74:75], s[22:23], v[156:157]
	v_pk_mul_f32 v[162:163], v[102:103], s[34:35]
	v_mov_b32_e32 v65, v159
	s_mov_b32 s14, s35
	s_mov_b32 s15, s34
	;; [unrolled: 1-line block ×3, first 2 shown]
	v_pk_add_f32 v[48:49], v[64:65], v[48:49]
	v_pk_fma_f32 v[64:65], v[76:77], s[14:15], v[162:163] neg_lo:[0,0,1] neg_hi:[0,0,1]
	v_pk_fma_f32 v[160:161], v[76:77], s[14:15], v[162:163]
	s_mov_b32 s47, 0x3dbcf732
	v_mov_b32_e32 v65, v161
	v_pk_mul_f32 v[166:167], v[100:101], s[46:47]
	s_mov_b32 s36, s47
	s_mov_b32 s37, s46
	;; [unrolled: 1-line block ×3, first 2 shown]
	v_pk_add_f32 v[48:49], v[64:65], v[48:49]
	v_pk_fma_f32 v[64:65], v[78:79], s[36:37], v[166:167] neg_lo:[0,0,1] neg_hi:[0,0,1]
	v_pk_fma_f32 v[164:165], v[78:79], s[36:37], v[166:167]
	s_mov_b32 s51, 0x3f3d2fb0
	v_mov_b32_e32 v65, v165
	v_pk_mul_f32 v[170:171], v[98:99], s[50:51]
	s_mov_b32 s20, s51
	s_mov_b32 s21, s50
	;; [unrolled: 1-line block ×3, first 2 shown]
	v_pk_add_f32 v[48:49], v[64:65], v[48:49]
	v_pk_fma_f32 v[64:65], v[80:81], s[20:21], v[170:171] neg_lo:[0,0,1] neg_hi:[0,0,1]
	v_pk_fma_f32 v[168:169], v[80:81], s[20:21], v[170:171]
	s_mov_b32 s49, 0xbf7ba420
	s_mov_b32 s30, 0x3f65296c
	v_mov_b32_e32 v65, v169
	v_pk_mul_f32 v[172:173], v[96:97], s[48:49]
	s_mov_b32 s18, s49
	s_mov_b32 s19, s48
	;; [unrolled: 1-line block ×3, first 2 shown]
	v_pk_mul_f32 v[20:21], v[92:93], s[34:35] op_sel_hi:[1,0]
	s_mov_b32 s31, 0x3ee437d1
	v_pk_add_f32 v[48:49], v[64:65], v[48:49]
	v_pk_fma_f32 v[64:65], v[82:83], s[18:19], v[172:173] neg_lo:[0,0,1] neg_hi:[0,0,1]
	v_pk_fma_f32 v[174:175], v[82:83], s[18:19], v[172:173]
	v_pk_fma_f32 v[142:143], v[90:91], s[2:3], v[20:21] op_sel:[0,0,1] op_sel_hi:[1,0,0] neg_lo:[0,0,1] neg_hi:[0,0,1]
	v_pk_fma_f32 v[106:107], v[90:91], s[2:3], v[20:21] op_sel:[0,0,1] op_sel_hi:[1,0,0]
	s_mov_b32 s2, s31
	s_mov_b32 s3, s30
	v_mov_b32_e32 v65, v175
	v_pk_mul_f32 v[178:179], v[94:95], s[30:31]
	v_pk_add_f32 v[48:49], v[64:65], v[48:49]
	v_pk_fma_f32 v[64:65], v[84:85], s[2:3], v[178:179] neg_lo:[0,0,1] neg_hi:[0,0,1]
	v_pk_fma_f32 v[176:177], v[84:85], s[2:3], v[178:179]
	v_pk_mul_f32 v[112:113], v[88:89], s[30:31]
	v_mov_b32_e32 v65, v177
	v_pk_fma_f32 v[20:21], v[26:27], s[2:3], v[112:113] neg_lo:[0,0,1] neg_hi:[0,0,1]
	v_pk_fma_f32 v[108:109], v[26:27], s[2:3], v[112:113]
	v_pk_add_f32 v[72:73], v[64:65], v[48:49]
	v_mov_b32_e32 v48, v142
	v_mov_b32_e32 v49, v107
	s_mov_b32 s66, 0xbf7ee86f
	s_mov_b32 s67, s47
	v_pk_add_f32 v[48:49], v[70:71], v[48:49]
	v_mov_b32_e32 v21, v109
	v_pk_mul_f32 v[180:181], v[104:105], s[66:67]
	s_mov_b32 s24, s47
	s_mov_b32 s25, s66
	v_pk_add_f32 v[20:21], v[20:21], v[48:49]
	v_pk_fma_f32 v[48:49], v[74:75], s[24:25], v[180:181] neg_lo:[0,0,1] neg_hi:[0,0,1]
	v_pk_fma_f32 v[182:183], v[74:75], s[24:25], v[180:181]
	s_mov_b32 s64, 0x3f4c4adb
	s_mov_b32 s65, s45
	v_mov_b32_e32 v49, v183
	v_pk_mul_f32 v[184:185], v[102:103], s[64:65]
	s_mov_b32 s40, s45
	s_mov_b32 s41, s64
	v_pk_add_f32 v[20:21], v[48:49], v[20:21]
	v_pk_fma_f32 v[48:49], v[76:77], s[40:41], v[184:185] neg_lo:[0,0,1] neg_hi:[0,0,1]
	v_pk_fma_f32 v[186:187], v[76:77], s[40:41], v[184:185]
	v_pk_mul_f32 v[190:191], v[100:101], s[58:59]
	v_mov_b32_e32 v49, v187
	v_pk_add_f32 v[20:21], v[48:49], v[20:21]
	v_pk_fma_f32 v[48:49], v[78:79], s[22:23], v[190:191] neg_lo:[0,0,1] neg_hi:[0,0,1]
	v_pk_fma_f32 v[188:189], v[78:79], s[22:23], v[190:191]
	v_pk_mul_f32 v[194:195], v[98:99], s[48:49]
	v_mov_b32_e32 v49, v189
	v_pk_add_f32 v[20:21], v[48:49], v[20:21]
	v_pk_fma_f32 v[48:49], v[80:81], s[18:19], v[194:195] neg_lo:[0,0,1] neg_hi:[0,0,1]
	v_pk_fma_f32 v[192:193], v[80:81], s[18:19], v[194:195]
	s_mov_b32 s56, 0x3f2c7751
	s_mov_b32 s57, s51
	v_mov_b32_e32 v49, v193
	v_pk_mul_f32 v[196:197], v[96:97], s[56:57]
	s_mov_b32 s38, s51
	s_mov_b32 s39, s56
	v_pk_add_f32 v[20:21], v[48:49], v[20:21]
	v_pk_fma_f32 v[48:49], v[82:83], s[38:39], v[196:197] neg_lo:[0,0,1] neg_hi:[0,0,1]
	v_pk_fma_f32 v[198:199], v[82:83], s[38:39], v[196:197]
	s_mov_b32 s54, 0xbf763a35
	s_mov_b32 s55, s61
	v_mov_b32_e32 v49, v199
	v_pk_mul_f32 v[200:201], v[94:95], s[54:55]
	s_mov_b32 s28, s61
	s_mov_b32 s29, s54
	v_pk_add_f32 v[20:21], v[48:49], v[20:21]
	v_pk_fma_f32 v[48:49], v[84:85], s[28:29], v[200:201] neg_lo:[0,0,1] neg_hi:[0,0,1]
	v_pk_fma_f32 v[206:207], v[84:85], s[28:29], v[200:201]
	s_nop 0
	v_mov_b32_e32 v49, v207
	v_pk_add_f32 v[86:87], v[48:49], v[20:21]
	s_barrier
	s_and_saveexec_b64 s[26:27], vcc
	s_cbranch_execz .LBB0_17
; %bb.16:
	v_pk_add_f32 v[28:29], v[28:29], v[70:71]
	v_accvgpr_read_b32 v23, a3
	v_pk_add_f32 v[28:29], v[30:31], v[28:29]
	v_lshl_add_u32 v48, v22, 3, v23
	v_pk_add_f32 v[28:29], v[32:33], v[28:29]
	s_mov_b32 s42, s59
	v_pk_add_f32 v[28:29], v[34:35], v[28:29]
	v_pk_mul_f32 v[20:21], v[92:93], s[58:59] op_sel_hi:[1,0]
	v_pk_add_f32 v[28:29], v[44:45], v[28:29]
	v_pk_mul_f32 v[32:33], v[88:89], s[50:51]
	v_pk_add_f32 v[22:23], v[46:47], v[28:29]
	v_pk_fma_f32 v[28:29], v[90:91], s[42:43], v[20:21] op_sel:[0,0,1] op_sel_hi:[1,0,0]
	v_pk_add_f32 v[22:23], v[36:37], v[22:23]
	v_accvgpr_write_b32 a1, v29
	v_pk_add_f32 v[22:23], v[38:39], v[22:23]
	v_pk_fma_f32 v[30:31], v[26:27], s[20:21], v[32:33] neg_lo:[1,0,0] neg_hi:[1,0,0]
	v_pk_add_f32 v[22:23], v[40:41], v[22:23]
	v_accvgpr_write_b32 a6, v32
	v_pk_add_f32 v[22:23], v[42:43], v[22:23]
	s_mov_b32 s71, s31
	v_pk_add_f32 v[22:23], v[24:25], v[22:23]
	v_accvgpr_write_b32 a7, v33
	v_pk_add_f32 v[22:23], v[212:213], v[22:23]
	s_mov_b32 s52, s51
	v_pk_add_f32 v[22:23], v[210:211], v[22:23]
	v_pk_mul_f32 v[36:37], v[88:89], s[66:67]
	v_pk_add_f32 v[22:23], v[204:205], v[22:23]
	v_pk_mul_f32 v[34:35], v[104:105], s[44:45]
	v_pk_add_f32 v[22:23], v[202:203], v[22:23]
	s_mov_b32 s73, s35
	v_pk_add_f32 v[24:25], v[208:209], v[22:23]
	v_pk_fma_f32 v[22:23], v[90:91], s[42:43], v[20:21] op_sel:[0,0,1] op_sel_hi:[1,0,0] neg_lo:[0,0,1] neg_hi:[0,0,1]
	s_mov_b32 s43, 0xbf65296c
	v_mov_b32_e32 v20, v28
	v_mov_b32_e32 v21, v23
	v_pk_fma_f32 v[28:29], v[26:27], s[20:21], v[32:33]
	s_mov_b32 s70, s43
	v_pk_add_f32 v[20:21], v[70:71], v[20:21]
	v_mov_b32_e32 v30, v28
	s_mov_b32 s42, s31
	v_pk_mul_f32 v[32:33], v[104:105], s[70:71]
	v_accvgpr_write_b32 a5, v29
	v_pk_add_f32 v[20:21], v[30:31], v[20:21]
	v_pk_fma_f32 v[28:29], v[74:75], s[42:43], v[32:33]
	v_pk_fma_f32 v[30:31], v[74:75], s[42:43], v[32:33] neg_lo:[1,0,0] neg_hi:[1,0,0]
	v_accvgpr_write_b32 a12, v32
	v_accvgpr_write_b32 a13, v33
	v_mov_b32_e32 v30, v28
	v_pk_mul_f32 v[32:33], v[102:103], s[66:67]
	v_accvgpr_write_b32 a9, v29
	v_pk_add_f32 v[20:21], v[30:31], v[20:21]
	v_pk_fma_f32 v[28:29], v[76:77], s[24:25], v[32:33]
	v_pk_fma_f32 v[30:31], v[76:77], s[24:25], v[32:33] neg_lo:[1,0,0] neg_hi:[1,0,0]
	v_accvgpr_write_b32 a16, v32
	v_accvgpr_write_b32 a17, v33
	v_mov_b32_e32 v30, v28
	;; [unrolled: 8-line block ×5, first 2 shown]
	v_pk_mul_f32 v[32:33], v[94:95], s[48:49]
	v_accvgpr_write_b32 a23, v29
	v_pk_add_f32 v[20:21], v[30:31], v[20:21]
	v_pk_fma_f32 v[28:29], v[84:85], s[18:19], v[32:33]
	v_pk_fma_f32 v[30:31], v[84:85], s[18:19], v[32:33] neg_lo:[1,0,0] neg_hi:[1,0,0]
	v_accvgpr_write_b32 a27, v29
	v_mov_b32_e32 v30, v28
	v_pk_add_f32 v[20:21], v[30:31], v[20:21]
	ds_write2_b64 v48, v[24:25], v[20:21] offset1:1
	v_pk_mul_f32 v[20:21], v[92:93], s[50:51] op_sel_hi:[1,0]
	v_pk_fma_f32 v[28:29], v[26:27], s[24:25], v[36:37]
	v_pk_fma_f32 v[24:25], v[90:91], s[52:53], v[20:21] op_sel:[0,0,1] op_sel_hi:[1,0,0]
	v_pk_fma_f32 v[116:117], v[90:91], s[52:53], v[20:21] op_sel:[0,0,1] op_sel_hi:[1,0,0] neg_lo:[0,0,1] neg_hi:[0,0,1]
	v_mov_b32_e32 v20, v24
	v_accvgpr_write_b32 a33, v25
	v_mov_b32_e32 v21, v117
	v_pk_fma_f32 v[24:25], v[26:27], s[24:25], v[36:37] neg_lo:[1,0,0] neg_hi:[1,0,0]
	v_pk_add_f32 v[20:21], v[70:71], v[20:21]
	v_mov_b32_e32 v24, v28
	v_accvgpr_write_b32 a30, v32
	v_accvgpr_write_b32 a35, v29
	v_pk_add_f32 v[20:21], v[24:25], v[20:21]
	v_pk_fma_f32 v[28:29], v[74:75], s[10:11], v[34:35]
	v_pk_fma_f32 v[24:25], v[74:75], s[10:11], v[34:35] neg_lo:[1,0,0] neg_hi:[1,0,0]
	v_accvgpr_write_b32 a31, v33
	v_mov_b32_e32 v24, v28
	v_pk_mul_f32 v[32:33], v[102:103], s[48:49]
	s_mov_b32 s51, 0x3f06c442
	v_accvgpr_write_b32 a37, v29
	v_pk_add_f32 v[20:21], v[24:25], v[20:21]
	v_pk_fma_f32 v[28:29], v[76:77], s[18:19], v[32:33]
	v_pk_fma_f32 v[24:25], v[76:77], s[18:19], v[32:33] neg_lo:[1,0,0] neg_hi:[1,0,0]
	s_mov_b32 s72, s51
	v_mov_b32_e32 v24, v28
	s_mov_b32 s50, s35
	v_pk_mul_f32 v[30:31], v[100:101], s[72:73]
	v_pk_add_f32 v[20:21], v[24:25], v[20:21]
	v_pk_fma_f32 v[24:25], v[78:79], s[50:51], v[30:31]
	v_pk_fma_f32 v[110:111], v[78:79], s[50:51], v[30:31] neg_lo:[1,0,0] neg_hi:[1,0,0]
	v_accvgpr_write_b32 a39, v29
	v_mov_b32_e32 v110, v24
	v_pk_mul_f32 v[28:29], v[98:99], s[60:61]
	v_accvgpr_write_b32 a41, v25
	v_pk_add_f32 v[20:21], v[110:111], v[20:21]
	v_pk_fma_f32 v[24:25], v[80:81], s[16:17], v[28:29]
	v_pk_fma_f32 v[110:111], v[80:81], s[16:17], v[28:29] neg_lo:[1,0,0] neg_hi:[1,0,0]
	v_accvgpr_write_b32 a43, v25
	v_mov_b32_e32 v110, v24
	v_pk_mul_f32 v[24:25], v[96:97], s[30:31]
	s_mov_b32 s53, 0x3eb8f4ab
	v_pk_add_f32 v[20:21], v[110:111], v[20:21]
	v_pk_fma_f32 v[38:39], v[82:83], s[2:3], v[24:25]
	v_pk_fma_f32 v[110:111], v[82:83], s[2:3], v[24:25] neg_lo:[1,0,0] neg_hi:[1,0,0]
	s_mov_b32 s68, s53
	s_mov_b32 s69, s59
	v_mov_b32_e32 v110, v38
	s_mov_b32 s52, s59
	v_mov_b32_e32 v49, v150
	v_pk_mul_f32 v[150:151], v[94:95], s[68:69]
	v_accvgpr_write_b32 a45, v39
	v_pk_add_f32 v[20:21], v[110:111], v[20:21]
	v_pk_fma_f32 v[38:39], v[84:85], s[52:53], v[150:151]
	v_pk_fma_f32 v[110:111], v[84:85], s[52:53], v[150:151] neg_lo:[1,0,0] neg_hi:[1,0,0]
	s_mov_b32 s74, s43
	v_mov_b32_e32 v110, v38
	v_pk_add_f32 v[20:21], v[110:111], v[20:21]
	s_mov_b32 s62, s31
	v_pk_mul_f32 v[110:111], v[92:93], s[74:75] op_sel_hi:[1,0]
	v_accvgpr_write_b32 a47, v39
	v_pk_fma_f32 v[38:39], v[90:91], s[62:63], v[110:111] op_sel:[0,0,1] op_sel_hi:[1,0,0]
	v_pk_fma_f32 v[204:205], v[90:91], s[62:63], v[110:111] op_sel:[0,0,1] op_sel_hi:[1,0,0] neg_lo:[0,0,1] neg_hi:[0,0,1]
	v_pk_mul_f32 v[210:211], v[88:89], s[44:45]
	s_mov_b32 s63, 0x3e3c28d5
	v_mov_b32_e32 v110, v38
	v_mov_b32_e32 v117, v39
	;; [unrolled: 1-line block ×3, first 2 shown]
	v_pk_fma_f32 v[38:39], v[26:27], s[10:11], v[210:211]
	v_pk_fma_f32 v[114:115], v[26:27], s[10:11], v[210:211] neg_lo:[1,0,0] neg_hi:[1,0,0]
	s_mov_b32 s74, s63
	s_mov_b32 s75, s49
	v_pk_add_f32 v[110:111], v[70:71], v[110:111]
	v_mov_b32_e32 v114, v38
	s_mov_b32 s62, s49
	v_pk_mul_f32 v[214:215], v[104:105], s[74:75]
	v_pk_add_f32 v[110:111], v[114:115], v[110:111]
	v_pk_fma_f32 v[64:65], v[74:75], s[62:63], v[214:215]
	v_pk_fma_f32 v[114:115], v[74:75], s[62:63], v[214:215] neg_lo:[1,0,0] neg_hi:[1,0,0]
	v_pk_mul_f32 v[218:219], v[102:103], s[60:61]
	v_mov_b32_e32 v114, v64
	v_pk_add_f32 v[110:111], v[114:115], v[110:111]
	v_pk_fma_f32 v[46:47], v[76:77], s[16:17], v[218:219]
	v_pk_fma_f32 v[114:115], v[76:77], s[16:17], v[218:219] neg_lo:[1,0,0] neg_hi:[1,0,0]
	v_pk_mul_f32 v[222:223], v[100:101], s[56:57]
	v_mov_b32_e32 v114, v46
	;; [unrolled: 5-line block ×5, first 2 shown]
	v_accvgpr_write_b32 a49, v39
	v_pk_add_f32 v[110:111], v[114:115], v[110:111]
	v_pk_fma_f32 v[38:39], v[84:85], s[14:15], v[234:235]
	v_pk_fma_f32 v[114:115], v[84:85], s[14:15], v[234:235] neg_lo:[1,0,0] neg_hi:[1,0,0]
	s_mov_b32 s74, s47
	v_mov_b32_e32 v114, v38
	v_pk_add_f32 v[110:111], v[114:115], v[110:111]
	ds_write2_b64 v48, v[20:21], v[110:111] offset0:2 offset1:3
	v_pk_mul_f32 v[20:21], v[92:93], s[66:67] op_sel_hi:[1,0]
	v_pk_mul_f32 v[242:243], v[88:89], s[48:49]
	v_pk_fma_f32 v[236:237], v[90:91], s[74:75], v[20:21] op_sel:[0,0,1] op_sel_hi:[1,0,0]
	v_pk_fma_f32 v[238:239], v[90:91], s[74:75], v[20:21] op_sel:[0,0,1] op_sel_hi:[1,0,0] neg_lo:[0,0,1] neg_hi:[0,0,1]
	v_mov_b32_e32 v20, v236
	v_mov_b32_e32 v21, v239
	v_pk_fma_f32 v[240:241], v[26:27], s[18:19], v[242:243]
	v_pk_fma_f32 v[110:111], v[26:27], s[18:19], v[242:243] neg_lo:[1,0,0] neg_hi:[1,0,0]
	v_pk_add_f32 v[20:21], v[70:71], v[20:21]
	v_mov_b32_e32 v110, v240
	v_pk_mul_f32 v[246:247], v[104:105], s[60:61]
	v_pk_add_f32 v[20:21], v[110:111], v[20:21]
	v_pk_fma_f32 v[244:245], v[74:75], s[16:17], v[246:247]
	v_pk_fma_f32 v[110:111], v[74:75], s[16:17], v[246:247] neg_lo:[1,0,0] neg_hi:[1,0,0]
	v_pk_mul_f32 v[250:251], v[102:103], s[68:69]
	v_mov_b32_e32 v110, v244
	v_pk_add_f32 v[20:21], v[110:111], v[20:21]
	v_pk_fma_f32 v[248:249], v[76:77], s[52:53], v[250:251]
	v_pk_fma_f32 v[110:111], v[76:77], s[52:53], v[250:251] neg_lo:[1,0,0] neg_hi:[1,0,0]
	v_pk_mul_f32 v[254:255], v[100:101], s[70:71]
	v_mov_b32_e32 v110, v248
	v_pk_add_f32 v[20:21], v[110:111], v[20:21]
	v_pk_fma_f32 v[252:253], v[78:79], s[42:43], v[254:255]
	v_pk_fma_f32 v[110:111], v[78:79], s[42:43], v[254:255] neg_lo:[1,0,0] neg_hi:[1,0,0]
	s_mov_b32 s60, s61
	v_mov_b32_e32 v110, v252
	v_pk_add_f32 v[114:115], v[110:111], v[20:21]
	v_pk_mul_f32 v[110:111], v[98:99], s[34:35]
	v_mov_b32_e32 v23, v139
	v_pk_fma_f32 v[20:21], v[80:81], s[14:15], v[110:111]
	v_pk_fma_f32 v[118:119], v[80:81], s[14:15], v[110:111] neg_lo:[1,0,0] neg_hi:[1,0,0]
	v_mov_b32_e32 v38, v148
	v_mov_b32_e32 v118, v20
	v_pk_add_f32 v[122:123], v[118:119], v[114:115]
	v_pk_mul_f32 v[118:119], v[96:97], s[64:65]
	v_mov_b32_e32 v20, v138
	v_pk_fma_f32 v[114:115], v[82:83], s[40:41], v[118:119]
	v_pk_fma_f32 v[126:127], v[82:83], s[40:41], v[118:119] neg_lo:[1,0,0] neg_hi:[1,0,0]
	v_mov_b32_e32 v40, v149
	v_mov_b32_e32 v126, v114
	v_pk_add_f32 v[130:131], v[126:127], v[122:123]
	v_pk_mul_f32 v[126:127], v[94:95], s[56:57]
	v_pk_mul_f32 v[148:149], v[88:89], s[72:73]
	v_pk_fma_f32 v[66:67], v[84:85], s[38:39], v[126:127]
	v_pk_fma_f32 v[122:123], v[84:85], s[38:39], v[126:127] neg_lo:[1,0,0] neg_hi:[1,0,0]
	v_pk_fma_f32 v[202:203], v[26:27], s[50:51], v[148:149]
	v_mov_b32_e32 v122, v66
	v_pk_add_f32 v[122:123], v[122:123], v[130:131]
	v_pk_mul_f32 v[130:131], v[92:93], s[54:55] op_sel_hi:[1,0]
	v_pk_fma_f32 v[68:69], v[26:27], s[50:51], v[148:149] neg_lo:[1,0,0] neg_hi:[1,0,0]
	v_pk_fma_f32 v[138:139], v[90:91], s[60:61], v[130:131] op_sel:[0,0,1] op_sel_hi:[1,0,0]
	v_pk_fma_f32 v[130:131], v[90:91], s[60:61], v[130:131] op_sel:[0,0,1] op_sel_hi:[1,0,0] neg_lo:[0,0,1] neg_hi:[0,0,1]
	v_mov_b32_e32 v134, v138
	v_mov_b32_e32 v135, v131
	v_pk_add_f32 v[134:135], v[70:71], v[134:135]
	v_mov_b32_e32 v68, v202
	v_pk_add_f32 v[68:69], v[68:69], v[134:135]
	v_pk_mul_f32 v[134:135], v[104:105], s[56:57]
	v_mov_b32_e32 v138, v20
	v_pk_fma_f32 v[212:213], v[74:75], s[38:39], v[134:135]
	v_pk_fma_f32 v[208:209], v[74:75], s[38:39], v[134:135] neg_lo:[1,0,0] neg_hi:[1,0,0]
	v_mov_b32_e32 v20, v137
	v_mov_b32_e32 v208, v212
	v_pk_add_f32 v[68:69], v[208:209], v[68:69]
	v_pk_mul_f32 v[208:209], v[102:103], s[70:71]
	v_mov_b32_e32 v107, v143
	v_pk_fma_f32 v[220:221], v[76:77], s[42:43], v[208:209]
	v_pk_fma_f32 v[216:217], v[76:77], s[42:43], v[208:209] neg_lo:[1,0,0] neg_hi:[1,0,0]
	v_pk_add_f32 v[106:107], v[70:71], v[106:107]
	v_mov_b32_e32 v216, v220
	v_pk_add_f32 v[68:69], v[216:217], v[68:69]
	v_pk_mul_f32 v[216:217], v[100:101], s[48:49]
	v_pk_mul_f32 v[142:143], v[76:77], s[40:41]
	v_pk_fma_f32 v[228:229], v[78:79], s[18:19], v[216:217]
	v_pk_fma_f32 v[224:225], v[78:79], s[18:19], v[216:217] neg_lo:[1,0,0] neg_hi:[1,0,0]
	v_pk_mul_f32 v[88:89], v[88:89], s[68:69]
	v_mov_b32_e32 v224, v228
	v_pk_add_f32 v[68:69], v[224:225], v[68:69]
	v_pk_mul_f32 v[224:225], v[98:99], s[46:47]
	v_pk_mul_f32 v[104:105], v[104:105], s[34:35]
	v_pk_fma_f32 v[120:121], v[80:81], s[36:37], v[224:225]
	v_pk_fma_f32 v[232:233], v[80:81], s[36:37], v[224:225] neg_lo:[1,0,0] neg_hi:[1,0,0]
	v_pk_mul_f32 v[102:103], v[102:103], s[56:57]
	v_mov_b32_e32 v232, v120
	v_pk_add_f32 v[68:69], v[232:233], v[68:69]
	v_pk_mul_f32 v[232:233], v[96:97], s[58:59]
	s_mov_b32 s58, s49
	v_pk_fma_f32 v[128:129], v[82:83], s[22:23], v[232:233]
	v_pk_fma_f32 v[124:125], v[82:83], s[22:23], v[232:233] neg_lo:[1,0,0] neg_hi:[1,0,0]
	v_pk_mul_f32 v[100:101], v[100:101], s[44:45]
	v_mov_b32_e32 v124, v128
	v_pk_add_f32 v[68:69], v[124:125], v[68:69]
	v_pk_mul_f32 v[124:125], v[94:95], s[44:45]
	v_pk_mul_f32 v[98:99], v[98:99], s[30:31]
	v_pk_fma_f32 v[136:137], v[84:85], s[10:11], v[124:125]
	v_pk_fma_f32 v[132:133], v[84:85], s[10:11], v[124:125] neg_lo:[1,0,0] neg_hi:[1,0,0]
	v_pk_mul_f32 v[96:97], v[96:97], s[54:55]
	v_mov_b32_e32 v132, v136
	v_pk_add_f32 v[68:69], v[132:133], v[68:69]
	ds_write2_b64 v48, v[122:123], v[68:69] offset0:4 offset1:5
	v_pk_mul_f32 v[68:69], v[26:27], s[2:3]
	v_pk_mul_f32 v[122:123], v[78:79], s[36:37]
	v_pk_add_f32 v[68:69], v[112:113], v[68:69] neg_lo:[0,1] neg_hi:[0,1]
	v_pk_mul_f32 v[112:113], v[74:75], s[22:23]
	v_mov_b32_e32 v109, v69
	v_pk_mul_f32 v[68:69], v[146:147], s[10:11]
	v_pk_add_f32 v[112:113], v[156:157], v[112:113] neg_lo:[0,1] neg_hi:[0,1]
	v_pk_add_f32 v[68:69], v[144:145], v[68:69] neg_lo:[0,1] neg_hi:[0,1]
	v_mov_b32_e32 v159, v113
	v_mov_b32_e32 v141, v69
	v_pk_mul_f32 v[68:69], v[26:27], s[16:17]
	v_pk_mul_f32 v[112:113], v[76:77], s[14:15]
	v_pk_add_f32 v[122:123], v[166:167], v[122:123] neg_lo:[0,1] neg_hi:[0,1]
	v_pk_add_f32 v[68:69], v[152:153], v[68:69] neg_lo:[0,1] neg_hi:[0,1]
	;; [unrolled: 1-line block ×3, first 2 shown]
	v_mov_b32_e32 v165, v123
	v_pk_mul_f32 v[122:123], v[74:75], s[24:25]
	v_mov_b32_e32 v155, v69
	v_pk_add_f32 v[68:69], v[70:71], v[140:141]
	v_mov_b32_e32 v161, v113
	v_pk_mul_f32 v[112:113], v[80:81], s[20:21]
	v_pk_add_f32 v[106:107], v[108:109], v[106:107]
	v_pk_add_f32 v[108:109], v[180:181], v[122:123] neg_lo:[0,1] neg_hi:[0,1]
	v_pk_add_f32 v[68:69], v[154:155], v[68:69]
	v_pk_add_f32 v[112:113], v[170:171], v[112:113] neg_lo:[0,1] neg_hi:[0,1]
	v_pk_mul_f32 v[144:145], v[78:79], s[22:23]
	v_mov_b32_e32 v183, v109
	v_pk_add_f32 v[108:109], v[184:185], v[142:143] neg_lo:[0,1] neg_hi:[0,1]
	v_pk_add_f32 v[68:69], v[158:159], v[68:69]
	v_mov_b32_e32 v169, v113
	v_pk_mul_f32 v[112:113], v[80:81], s[18:19]
	v_pk_add_f32 v[106:107], v[182:183], v[106:107]
	v_mov_b32_e32 v187, v109
	v_pk_add_f32 v[108:109], v[190:191], v[144:145] neg_lo:[0,1] neg_hi:[0,1]
	v_pk_add_f32 v[68:69], v[160:161], v[68:69]
	v_pk_mul_f32 v[132:133], v[82:83], s[18:19]
	v_pk_mul_f32 v[146:147], v[82:83], s[38:39]
	v_pk_add_f32 v[106:107], v[186:187], v[106:107]
	v_mov_b32_e32 v189, v109
	v_pk_add_f32 v[108:109], v[194:195], v[112:113] neg_lo:[0,1] neg_hi:[0,1]
	v_pk_mul_f32 v[140:141], v[84:85], s[2:3]
	v_pk_add_f32 v[68:69], v[164:165], v[68:69]
	v_pk_add_f32 v[132:133], v[172:173], v[132:133] neg_lo:[0,1] neg_hi:[0,1]
	v_pk_mul_f32 v[152:153], v[84:85], s[28:29]
	v_pk_add_f32 v[106:107], v[188:189], v[106:107]
	v_mov_b32_e32 v193, v109
	v_pk_add_f32 v[108:109], v[196:197], v[146:147] neg_lo:[0,1] neg_hi:[0,1]
	v_pk_add_f32 v[68:69], v[168:169], v[68:69]
	v_mov_b32_e32 v175, v133
	v_pk_add_f32 v[132:133], v[178:179], v[140:141] neg_lo:[0,1] neg_hi:[0,1]
	;; [unrolled: 3-line block ×3, first 2 shown]
	v_pk_add_f32 v[68:69], v[174:175], v[68:69]
	v_mov_b32_e32 v177, v133
	v_pk_add_f32 v[106:107], v[198:199], v[106:107]
	v_mov_b32_e32 v207, v109
	v_pk_add_f32 v[68:69], v[176:177], v[68:69]
	v_pk_add_f32 v[106:107], v[206:207], v[106:107]
	ds_write2_b64 v48, v[68:69], v[106:107] offset0:6 offset1:7
	v_pk_mul_f32 v[68:69], v[92:93], s[48:49] op_sel_hi:[1,0]
	v_pk_fma_f32 v[106:107], v[26:27], s[52:53], v[88:89]
	v_pk_fma_f32 v[92:93], v[90:91], s[58:59], v[68:69] op_sel:[0,0,1] op_sel_hi:[1,0,0]
	v_pk_fma_f32 v[68:69], v[90:91], s[58:59], v[68:69] op_sel:[0,0,1] op_sel_hi:[1,0,0] neg_lo:[0,0,1] neg_hi:[0,0,1]
	v_mov_b32_e32 v90, v92
	v_mov_b32_e32 v91, v69
	v_pk_fma_f32 v[108:109], v[26:27], s[52:53], v[88:89] neg_lo:[1,0,0] neg_hi:[1,0,0]
	v_mov_b32_e32 v69, v93
	v_pk_fma_f32 v[88:89], v[26:27], s[52:53], v[88:89] neg_lo:[0,0,1] neg_hi:[0,0,1]
	v_pk_add_f32 v[90:91], v[70:71], v[90:91]
	v_mov_b32_e32 v108, v106
	v_pk_add_f32 v[68:69], v[70:71], v[68:69]
	v_mov_b32_e32 v89, v107
	v_pk_add_f32 v[90:91], v[108:109], v[90:91]
	v_pk_fma_f32 v[108:109], v[74:75], s[14:15], v[104:105]
	v_pk_fma_f32 v[112:113], v[74:75], s[14:15], v[104:105] neg_lo:[1,0,0] neg_hi:[1,0,0]
	v_pk_add_f32 v[68:69], v[88:89], v[68:69]
	v_pk_fma_f32 v[88:89], v[74:75], s[14:15], v[104:105] neg_lo:[0,0,1] neg_hi:[0,0,1]
	v_mov_b32_e32 v112, v108
	v_mov_b32_e32 v89, v109
	v_pk_add_f32 v[90:91], v[112:113], v[90:91]
	v_pk_fma_f32 v[112:113], v[76:77], s[38:39], v[102:103]
	v_pk_fma_f32 v[122:123], v[76:77], s[38:39], v[102:103] neg_lo:[1,0,0] neg_hi:[1,0,0]
	v_pk_add_f32 v[68:69], v[88:89], v[68:69]
	v_pk_fma_f32 v[88:89], v[76:77], s[38:39], v[102:103] neg_lo:[0,0,1] neg_hi:[0,0,1]
	v_mov_b32_e32 v122, v112
	;; [unrolled: 7-line block ×5, first 2 shown]
	v_pk_mul_f32 v[94:95], v[94:95], s[46:47]
	v_mov_b32_e32 v89, v141
	v_pk_add_f32 v[90:91], v[142:143], v[90:91]
	v_pk_fma_f32 v[142:143], v[84:85], s[36:37], v[94:95]
	v_pk_fma_f32 v[144:145], v[84:85], s[36:37], v[94:95] neg_lo:[1,0,0] neg_hi:[1,0,0]
	v_pk_add_f32 v[68:69], v[88:89], v[68:69]
	v_pk_fma_f32 v[88:89], v[84:85], s[36:37], v[94:95] neg_lo:[0,0,1] neg_hi:[0,0,1]
	v_mov_b32_e32 v144, v142
	v_mov_b32_e32 v89, v143
	v_pk_add_f32 v[90:91], v[144:145], v[90:91]
	v_pk_add_f32 v[68:69], v[88:89], v[68:69]
	v_mov_b32_e32 v131, v139
	v_pk_fma_f32 v[88:89], v[26:27], s[50:51], v[148:149] neg_lo:[0,0,1] neg_hi:[0,0,1]
	ds_write2_b64 v48, v[90:91], v[68:69] offset0:8 offset1:9
	ds_write2_b64 v48, v[86:87], v[72:73] offset0:10 offset1:11
	v_pk_add_f32 v[68:69], v[70:71], v[130:131]
	v_mov_b32_e32 v89, v203
	v_pk_add_f32 v[68:69], v[88:89], v[68:69]
	v_pk_fma_f32 v[88:89], v[74:75], s[38:39], v[134:135] neg_lo:[0,0,1] neg_hi:[0,0,1]
	v_mov_b32_e32 v239, v237
	v_mov_b32_e32 v89, v213
	v_pk_add_f32 v[68:69], v[88:89], v[68:69]
	v_pk_fma_f32 v[88:89], v[76:77], s[42:43], v[208:209] neg_lo:[0,0,1] neg_hi:[0,0,1]
	v_pk_fma_f32 v[90:91], v[26:27], s[18:19], v[242:243] neg_lo:[0,0,1] neg_hi:[0,0,1]
	v_mov_b32_e32 v89, v221
	v_pk_add_f32 v[68:69], v[88:89], v[68:69]
	v_pk_fma_f32 v[88:89], v[78:79], s[18:19], v[216:217] neg_lo:[0,0,1] neg_hi:[0,0,1]
	v_mov_b32_e32 v91, v241
	v_mov_b32_e32 v89, v229
	v_pk_add_f32 v[68:69], v[88:89], v[68:69]
	v_pk_fma_f32 v[88:89], v[80:81], s[36:37], v[224:225] neg_lo:[0,0,1] neg_hi:[0,0,1]
	v_mov_b32_e32 v205, v117
	;; [unrolled: 4-line block ×3, first 2 shown]
	v_mov_b32_e32 v89, v129
	v_pk_add_f32 v[68:69], v[88:89], v[68:69]
	v_pk_fma_f32 v[88:89], v[84:85], s[10:11], v[124:125] neg_lo:[0,0,1] neg_hi:[0,0,1]
	v_accvgpr_read_b32 v117, a33
	v_mov_b32_e32 v89, v137
	v_pk_add_f32 v[68:69], v[88:89], v[68:69]
	v_pk_add_f32 v[88:89], v[70:71], v[238:239]
	v_mov_b32_e32 v137, v20
	v_pk_add_f32 v[88:89], v[90:91], v[88:89]
	v_pk_fma_f32 v[90:91], v[74:75], s[16:17], v[246:247] neg_lo:[0,0,1] neg_hi:[0,0,1]
	v_pk_fma_f32 v[36:37], v[26:27], s[24:25], v[36:37] neg_lo:[0,0,1] neg_hi:[0,0,1]
	v_mov_b32_e32 v91, v245
	v_pk_add_f32 v[88:89], v[90:91], v[88:89]
	v_pk_fma_f32 v[90:91], v[76:77], s[52:53], v[250:251] neg_lo:[0,0,1] neg_hi:[0,0,1]
	v_mov_b32_e32 v148, v38
	v_mov_b32_e32 v91, v249
	v_pk_add_f32 v[88:89], v[90:91], v[88:89]
	v_pk_fma_f32 v[90:91], v[78:79], s[42:43], v[254:255] neg_lo:[0,0,1] neg_hi:[0,0,1]
	v_accvgpr_read_b32 v37, a35
	v_mov_b32_e32 v91, v253
	v_pk_add_f32 v[88:89], v[90:91], v[88:89]
	v_pk_fma_f32 v[90:91], v[80:81], s[14:15], v[110:111] neg_lo:[0,0,1] neg_hi:[0,0,1]
	v_pk_fma_f32 v[34:35], v[74:75], s[10:11], v[34:35] neg_lo:[0,0,1] neg_hi:[0,0,1]
	v_mov_b32_e32 v91, v21
	v_pk_add_f32 v[20:21], v[90:91], v[88:89]
	v_pk_fma_f32 v[88:89], v[82:83], s[40:41], v[118:119] neg_lo:[0,0,1] neg_hi:[0,0,1]
	v_accvgpr_read_b32 v35, a37
	v_mov_b32_e32 v89, v115
	v_pk_add_f32 v[20:21], v[88:89], v[20:21]
	v_pk_fma_f32 v[88:89], v[84:85], s[38:39], v[126:127] neg_lo:[0,0,1] neg_hi:[0,0,1]
	v_pk_fma_f32 v[32:33], v[76:77], s[18:19], v[32:33] neg_lo:[0,0,1] neg_hi:[0,0,1]
	v_mov_b32_e32 v89, v67
	v_pk_add_f32 v[20:21], v[88:89], v[20:21]
	v_pk_fma_f32 v[66:67], v[26:27], s[10:11], v[210:211] neg_lo:[0,0,1] neg_hi:[0,0,1]
	ds_write2_b64 v48, v[68:69], v[20:21] offset0:12 offset1:13
	v_pk_add_f32 v[20:21], v[70:71], v[204:205]
	v_accvgpr_read_b32 v67, a49
	v_pk_add_f32 v[20:21], v[66:67], v[20:21]
	v_pk_fma_f32 v[66:67], v[74:75], s[62:63], v[214:215] neg_lo:[0,0,1] neg_hi:[0,0,1]
	v_accvgpr_read_b32 v33, a39
	v_mov_b32_e32 v67, v65
	v_pk_fma_f32 v[64:65], v[76:77], s[16:17], v[218:219] neg_lo:[0,0,1] neg_hi:[0,0,1]
	v_pk_fma_f32 v[30:31], v[78:79], s[50:51], v[30:31] neg_lo:[0,0,1] neg_hi:[0,0,1]
	v_mov_b32_e32 v65, v47
	v_pk_fma_f32 v[46:47], v[78:79], s[38:39], v[222:223] neg_lo:[0,0,1] neg_hi:[0,0,1]
	v_pk_add_f32 v[20:21], v[66:67], v[20:21]
	v_mov_b32_e32 v47, v45
	v_pk_fma_f32 v[44:45], v[80:81], s[22:23], v[226:227] neg_lo:[0,0,1] neg_hi:[0,0,1]
	v_accvgpr_read_b32 v31, a41
	v_mov_b32_e32 v45, v43
	v_pk_fma_f32 v[42:43], v[82:83], s[24:25], v[230:231] neg_lo:[0,0,1] neg_hi:[0,0,1]
	v_pk_fma_f32 v[28:29], v[80:81], s[16:17], v[28:29] neg_lo:[0,0,1] neg_hi:[0,0,1]
	v_mov_b32_e32 v43, v41
	v_pk_fma_f32 v[40:41], v[84:85], s[14:15], v[234:235] neg_lo:[0,0,1] neg_hi:[0,0,1]
	v_pk_add_f32 v[20:21], v[64:65], v[20:21]
	v_mov_b32_e32 v41, v39
	v_pk_add_f32 v[38:39], v[70:71], v[116:117]
	v_accvgpr_read_b32 v29, a43
	v_pk_add_f32 v[36:37], v[36:37], v[38:39]
	v_pk_fma_f32 v[24:25], v[82:83], s[2:3], v[24:25] neg_lo:[0,0,1] neg_hi:[0,0,1]
	v_pk_add_f32 v[34:35], v[34:35], v[36:37]
	v_pk_add_f32 v[20:21], v[46:47], v[20:21]
	;; [unrolled: 1-line block ×3, first 2 shown]
	v_accvgpr_read_b32 v25, a45
	v_pk_add_f32 v[30:31], v[30:31], v[32:33]
	v_pk_add_f32 v[20:21], v[44:45], v[20:21]
	;; [unrolled: 1-line block ×5, first 2 shown]
	v_pk_fma_f32 v[28:29], v[84:85], s[52:53], v[150:151] neg_lo:[0,0,1] neg_hi:[0,0,1]
	v_mov_b32_e32 v139, v23
	v_accvgpr_read_b32 v29, a47
	v_pk_add_f32 v[20:21], v[40:41], v[20:21]
	v_pk_add_f32 v[24:25], v[28:29], v[24:25]
	v_accvgpr_read_b32 v23, a1
	ds_write2_b64 v48, v[20:21], v[24:25] offset0:14 offset1:15
	v_pk_add_f32 v[20:21], v[70:71], v[22:23]
	v_accvgpr_read_b32 v23, a7
	v_accvgpr_read_b32 v22, a6
	v_pk_fma_f32 v[22:23], v[26:27], s[20:21], v[22:23] neg_lo:[0,0,1] neg_hi:[0,0,1]
	v_accvgpr_read_b32 v136, a0
	v_accvgpr_read_b32 v23, a5
	v_pk_add_f32 v[20:21], v[22:23], v[20:21]
	v_accvgpr_read_b32 v23, a13
	v_accvgpr_read_b32 v22, a12
	v_pk_fma_f32 v[22:23], v[74:75], s[42:43], v[22:23] neg_lo:[0,0,1] neg_hi:[0,0,1]
	v_mov_b32_e32 v150, v49
	v_accvgpr_read_b32 v23, a9
	v_pk_add_f32 v[20:21], v[22:23], v[20:21]
	v_accvgpr_read_b32 v23, a17
	v_accvgpr_read_b32 v22, a16
	v_pk_fma_f32 v[22:23], v[76:77], s[24:25], v[22:23] neg_lo:[0,0,1] neg_hi:[0,0,1]
	s_nop 0
	v_accvgpr_read_b32 v23, a11
	v_pk_add_f32 v[20:21], v[22:23], v[20:21]
	v_accvgpr_read_b32 v23, a21
	v_accvgpr_read_b32 v22, a20
	v_pk_fma_f32 v[22:23], v[78:79], s[28:29], v[22:23] neg_lo:[0,0,1] neg_hi:[0,0,1]
	s_nop 0
	;; [unrolled: 6-line block ×5, first 2 shown]
	v_accvgpr_read_b32 v23, a27
	v_pk_add_f32 v[20:21], v[22:23], v[20:21]
	ds_write_b64 v48, v[20:21] offset:128
.LBB0_17:
	s_or_b64 exec, exec, s[26:27]
	s_waitcnt lgkmcnt(0)
	s_barrier
	ds_read2_b64 v[36:39], v50 offset1:34
	ds_read2_b64 v[20:23], v50 offset0:136 offset1:187
	ds_read2_b64 v[32:35], v50 offset0:221 offset1:255
	;; [unrolled: 1-line block ×3, first 2 shown]
	v_add_u32_e32 v24, 0x800, v50
	ds_read2_b64 v[24:27], v24 offset0:33 offset1:67
	v_mov_b32_e32 v46, v60
	v_mov_b32_e32 v47, v60
	;; [unrolled: 1-line block ×15, first 2 shown]
	s_and_saveexec_b64 s[2:3], s[0:1]
	s_cbranch_execz .LBB0_19
; %bb.18:
	ds_read_b64 v[86:87], v50 offset:1360
	ds_read_b64 v[72:73], v50 offset:2856
.LBB0_19:
	s_or_b64 exec, exec, s[2:3]
	s_waitcnt lgkmcnt(3)
	v_pk_mul_f32 v[60:61], v[60:61], v[22:23]
	s_waitcnt lgkmcnt(2)
	v_pk_mul_f32 v[58:59], v[58:59], v[32:33]
	v_pk_fma_f32 v[64:65], v[46:47], v[22:23], v[60:61] op_sel:[0,0,1] op_sel_hi:[1,1,0]
	v_pk_fma_f32 v[22:23], v[46:47], v[22:23], v[60:61] op_sel:[0,0,1] op_sel_hi:[1,1,0] neg_lo:[0,0,1] neg_hi:[0,0,1]
	s_waitcnt lgkmcnt(0)
	v_mov_b32_e32 v65, v23
	v_pk_add_f32 v[22:23], v[36:37], v[64:65] neg_lo:[0,1] neg_hi:[0,1]
	s_barrier
	v_pk_fma_f32 v[36:37], v[36:37], 2.0, v[22:23] op_sel_hi:[1,0,1] neg_lo:[0,0,1] neg_hi:[0,0,1]
	ds_write2_b64 v148, v[36:37], v[22:23] offset1:17
	v_pk_fma_f32 v[22:23], v[44:45], v[32:33], v[58:59] op_sel:[0,0,1] op_sel_hi:[1,1,0]
	v_pk_fma_f32 v[32:33], v[44:45], v[32:33], v[58:59] op_sel:[0,0,1] op_sel_hi:[1,1,0] neg_lo:[0,0,1] neg_hi:[0,0,1]
	v_pk_mul_f32 v[56:57], v[56:57], v[34:35]
	v_mov_b32_e32 v23, v33
	v_pk_add_f32 v[22:23], v[38:39], v[22:23] neg_lo:[0,1] neg_hi:[0,1]
	v_pk_mul_f32 v[54:55], v[54:55], v[24:25]
	v_pk_fma_f32 v[32:33], v[38:39], 2.0, v[22:23] op_sel_hi:[1,0,1] neg_lo:[0,0,1] neg_hi:[0,0,1]
	ds_write2_b64 v149, v[32:33], v[22:23] offset1:17
	v_pk_fma_f32 v[22:23], v[42:43], v[34:35], v[56:57] op_sel:[0,0,1] op_sel_hi:[1,1,0]
	v_pk_fma_f32 v[32:33], v[42:43], v[34:35], v[56:57] op_sel:[0,0,1] op_sel_hi:[1,1,0] neg_lo:[0,0,1] neg_hi:[0,0,1]
	v_pk_mul_f32 v[62:63], v[62:63], v[26:27]
	v_mov_b32_e32 v23, v33
	v_pk_add_f32 v[22:23], v[28:29], v[22:23] neg_lo:[0,1] neg_hi:[0,1]
	s_nop 0
	v_pk_fma_f32 v[28:29], v[28:29], 2.0, v[22:23] op_sel_hi:[1,0,1] neg_lo:[0,0,1] neg_hi:[0,0,1]
	ds_write2_b64 v139, v[28:29], v[22:23] offset1:17
	v_pk_fma_f32 v[22:23], v[40:41], v[24:25], v[54:55] op_sel:[0,0,1] op_sel_hi:[1,1,0]
	v_pk_fma_f32 v[24:25], v[40:41], v[24:25], v[54:55] op_sel:[0,0,1] op_sel_hi:[1,1,0] neg_lo:[0,0,1] neg_hi:[0,0,1]
	s_nop 0
	v_mov_b32_e32 v23, v25
	v_pk_add_f32 v[22:23], v[30:31], v[22:23] neg_lo:[0,1] neg_hi:[0,1]
	s_nop 0
	v_pk_fma_f32 v[24:25], v[30:31], 2.0, v[22:23] op_sel_hi:[1,0,1] neg_lo:[0,0,1] neg_hi:[0,0,1]
	ds_write2_b64 v138, v[24:25], v[22:23] offset1:17
	v_pk_fma_f32 v[22:23], v[48:49], v[26:27], v[62:63] op_sel:[0,0,1] op_sel_hi:[1,1,0]
	v_pk_fma_f32 v[24:25], v[48:49], v[26:27], v[62:63] op_sel:[0,0,1] op_sel_hi:[1,1,0] neg_lo:[0,0,1] neg_hi:[0,0,1]
	s_nop 0
	v_mov_b32_e32 v23, v25
	v_pk_add_f32 v[22:23], v[20:21], v[22:23] neg_lo:[0,1] neg_hi:[0,1]
	s_nop 0
	v_pk_fma_f32 v[20:21], v[20:21], 2.0, v[22:23] op_sel_hi:[1,0,1] neg_lo:[0,0,1] neg_hi:[0,0,1]
	ds_write2_b64 v150, v[20:21], v[22:23] offset1:17
	s_and_saveexec_b64 s[2:3], s[0:1]
	s_cbranch_execz .LBB0_21
; %bb.20:
	v_pk_mul_f32 v[20:21], v[52:53], v[72:73] op_sel:[0,1]
	v_and_b32_e32 v22, 0xff, v137
	v_accvgpr_read_b32 v23, a3
	v_lshl_add_u32 v24, v22, 3, v23
	v_pk_fma_f32 v[22:23], v[52:53], v[72:73], v[20:21] op_sel:[0,0,1] op_sel_hi:[1,1,0]
	v_pk_fma_f32 v[20:21], v[52:53], v[72:73], v[20:21] op_sel:[0,0,1] op_sel_hi:[1,0,0] neg_lo:[1,0,0] neg_hi:[1,0,0]
	v_add_u32_e32 v24, 0x800, v24
	v_mov_b32_e32 v23, v21
	v_pk_add_f32 v[20:21], v[86:87], v[22:23] neg_lo:[0,1] neg_hi:[0,1]
	s_nop 0
	v_pk_fma_f32 v[22:23], v[86:87], 2.0, v[20:21] op_sel_hi:[1,0,1] neg_lo:[0,0,1] neg_hi:[0,0,1]
	ds_write2_b64 v24, v[22:23], v[20:21] offset0:84 offset1:101
.LBB0_21:
	s_or_b64 exec, exec, s[2:3]
	s_waitcnt lgkmcnt(0)
	s_barrier
	ds_read2_b64 v[24:27], v50 offset0:68 offset1:102
	ds_read2_b64 v[20:23], v50 offset1:34
	ds_read_b64 v[40:41], v50 offset:1088
	ds_read2_b64 v[28:31], v50 offset0:170 offset1:204
	v_add_u32_e32 v32, 0x400, v50
	s_waitcnt lgkmcnt(3)
	v_pk_mul_f32 v[42:43], v[2:3], v[24:25] op_sel:[1,0]
	ds_read2_b64 v[32:35], v32 offset0:110 offset1:144
	v_pk_fma_f32 v[44:45], v[2:3], v[24:25], v[42:43] op_sel:[0,0,1] op_sel_hi:[1,1,0]
	v_pk_fma_f32 v[2:3], v[2:3], v[24:25], v[42:43] op_sel:[0,0,1] op_sel_hi:[0,1,0] neg_lo:[0,0,1] neg_hi:[0,0,1]
	v_mov_b32_e32 v45, v3
	v_pk_mul_f32 v[2:3], v[12:13], v[26:27] op_sel:[1,0]
	v_add_u32_e32 v36, 0x800, v50
	v_pk_fma_f32 v[24:25], v[12:13], v[26:27], v[2:3] op_sel:[0,0,1] op_sel_hi:[1,1,0]
	v_pk_fma_f32 v[2:3], v[12:13], v[26:27], v[2:3] op_sel:[0,0,1] op_sel_hi:[0,1,0] neg_lo:[0,0,1] neg_hi:[0,0,1]
	v_mov_b32_e32 v25, v3
	s_waitcnt lgkmcnt(2)
	v_pk_mul_f32 v[2:3], v[14:15], v[40:41] op_sel:[1,0]
	ds_read2_b64 v[36:39], v36 offset0:50 offset1:84
	v_pk_fma_f32 v[12:13], v[14:15], v[40:41], v[2:3] op_sel:[0,0,1] op_sel_hi:[1,1,0]
	v_pk_fma_f32 v[2:3], v[14:15], v[40:41], v[2:3] op_sel:[0,0,1] op_sel_hi:[0,1,0] neg_lo:[0,0,1] neg_hi:[0,0,1]
	v_mov_b32_e32 v13, v3
	s_waitcnt lgkmcnt(2)
	v_pk_mul_f32 v[2:3], v[8:9], v[28:29] op_sel:[1,0]
	s_mov_b32 s16, 0xbf0a6770
	v_pk_fma_f32 v[14:15], v[8:9], v[28:29], v[2:3] op_sel:[0,0,1] op_sel_hi:[1,1,0]
	v_pk_fma_f32 v[2:3], v[8:9], v[28:29], v[2:3] op_sel:[0,0,1] op_sel_hi:[0,1,0] neg_lo:[0,0,1] neg_hi:[0,0,1]
	v_mov_b32_e32 v15, v3
	v_pk_mul_f32 v[2:3], v[10:11], v[30:31] op_sel:[1,0]
	s_mov_b32 s0, 0x3f575c64
	v_pk_fma_f32 v[8:9], v[10:11], v[30:31], v[2:3] op_sel:[0,0,1] op_sel_hi:[1,1,0]
	v_pk_fma_f32 v[2:3], v[10:11], v[30:31], v[2:3] op_sel:[0,0,1] op_sel_hi:[0,1,0] neg_lo:[0,0,1] neg_hi:[0,0,1]
	v_mov_b32_e32 v9, v3
	s_waitcnt lgkmcnt(1)
	v_pk_mul_f32 v[2:3], v[4:5], v[32:33] op_sel:[1,0]
	s_mov_b32 s26, 0xbf68dda4
	v_pk_fma_f32 v[10:11], v[4:5], v[32:33], v[2:3] op_sel:[0,0,1] op_sel_hi:[1,1,0]
	v_pk_fma_f32 v[2:3], v[4:5], v[32:33], v[2:3] op_sel:[0,0,1] op_sel_hi:[0,1,0] neg_lo:[0,0,1] neg_hi:[0,0,1]
	v_mov_b32_e32 v11, v3
	v_pk_mul_f32 v[2:3], v[6:7], v[34:35] op_sel:[1,0]
	s_mov_b32 s2, 0x3ed4b147
	v_pk_fma_f32 v[4:5], v[6:7], v[34:35], v[2:3] op_sel:[0,0,1] op_sel_hi:[1,1,0]
	v_pk_fma_f32 v[2:3], v[6:7], v[34:35], v[2:3] op_sel:[0,0,1] op_sel_hi:[0,1,0] neg_lo:[0,0,1] neg_hi:[0,0,1]
	v_mov_b32_e32 v5, v3
	s_waitcnt lgkmcnt(0)
	v_pk_mul_f32 v[2:3], v[16:17], v[36:37] op_sel:[1,0]
	s_mov_b32 s14, 0xbf7d64f0
	v_pk_fma_f32 v[6:7], v[16:17], v[36:37], v[2:3] op_sel:[0,0,1] op_sel_hi:[1,1,0]
	v_pk_fma_f32 v[2:3], v[16:17], v[36:37], v[2:3] op_sel:[0,0,1] op_sel_hi:[0,1,0] neg_lo:[0,0,1] neg_hi:[0,0,1]
	v_mov_b32_e32 v7, v3
	v_pk_mul_f32 v[2:3], v[18:19], v[38:39] op_sel:[1,0]
	v_pk_add_f32 v[28:29], v[44:45], v[6:7]
	v_pk_fma_f32 v[16:17], v[18:19], v[38:39], v[2:3] op_sel:[0,0,1] op_sel_hi:[1,1,0]
	v_pk_fma_f32 v[2:3], v[18:19], v[38:39], v[2:3] op_sel:[0,0,1] op_sel_hi:[0,1,0] neg_lo:[0,0,1] neg_hi:[0,0,1]
	v_mov_b32_e32 v17, v3
	v_pk_mul_f32 v[2:3], v[0:1], v[22:23] op_sel:[1,0]
	s_mov_b32 s10, 0xbe11bafb
	v_pk_fma_f32 v[18:19], v[0:1], v[22:23], v[2:3] op_sel:[0,0,1] op_sel_hi:[1,1,0]
	v_pk_fma_f32 v[0:1], v[0:1], v[22:23], v[2:3] op_sel:[0,0,1] op_sel_hi:[0,1,0] neg_lo:[0,0,1] neg_hi:[0,0,1]
	v_mov_b32_e32 v19, v1
	v_pk_add_f32 v[0:1], v[20:21], v[18:19]
	v_pk_add_f32 v[2:3], v[18:19], v[16:17]
	;; [unrolled: 1-line block ×3, first 2 shown]
	s_mov_b32 s20, 0xbf4178ce
	v_pk_add_f32 v[0:1], v[0:1], v[24:25]
	s_mov_b32 s18, 0xbf27a4f4
	v_pk_add_f32 v[0:1], v[0:1], v[12:13]
	;; [unrolled: 2-line block ×6, first 2 shown]
	s_nop 0
	v_pk_add_f32 v[0:1], v[0:1], v[6:7]
	v_pk_add_f32 v[6:7], v[44:45], v[6:7] neg_lo:[0,1] neg_hi:[0,1]
	v_pk_add_f32 v[0:1], v[0:1], v[16:17]
	v_pk_add_f32 v[16:17], v[18:19], v[16:17] neg_lo:[0,1] neg_hi:[0,1]
	v_pk_mul_f32 v[30:31], v[6:7], s[26:27] op_sel_hi:[1,0]
	v_pk_mul_f32 v[18:19], v[16:17], s[16:17] op_sel_hi:[1,0]
	v_pk_fma_f32 v[32:33], v[28:29], s[2:3], v[30:31] op_sel:[0,0,1] op_sel_hi:[1,0,0]
	v_pk_fma_f32 v[22:23], v[2:3], s[0:1], v[18:19] op_sel:[0,0,1] op_sel_hi:[1,0,0]
	v_pk_fma_f32 v[18:19], v[2:3], s[0:1], v[18:19] op_sel:[0,0,1] op_sel_hi:[1,0,0] neg_lo:[0,0,1] neg_hi:[0,0,1]
	v_mov_b32_e32 v26, v22
	v_mov_b32_e32 v27, v19
	v_pk_fma_f32 v[30:31], v[28:29], s[2:3], v[30:31] op_sel:[0,0,1] op_sel_hi:[1,0,0] neg_lo:[0,0,1] neg_hi:[0,0,1]
	v_pk_add_f32 v[26:27], v[20:21], v[26:27]
	v_mov_b32_e32 v34, v32
	v_mov_b32_e32 v35, v31
	v_pk_add_f32 v[26:27], v[34:35], v[26:27]
	v_pk_add_f32 v[34:35], v[24:25], v[4:5]
	v_pk_add_f32 v[4:5], v[24:25], v[4:5] neg_lo:[0,1] neg_hi:[0,1]
	ds_write_b64 v51, v[0:1]
	v_pk_mul_f32 v[24:25], v[4:5], s[14:15] op_sel_hi:[1,0]
	v_pk_mul_f32 v[0:1], v[16:17], s[26:27] op_sel_hi:[1,0]
	v_pk_fma_f32 v[36:37], v[34:35], s[10:11], v[24:25] op_sel:[0,0,1] op_sel_hi:[1,0,0]
	v_pk_fma_f32 v[24:25], v[34:35], s[10:11], v[24:25] op_sel:[0,0,1] op_sel_hi:[1,0,0] neg_lo:[0,0,1] neg_hi:[0,0,1]
	v_mov_b32_e32 v38, v36
	v_mov_b32_e32 v39, v25
	v_pk_add_f32 v[26:27], v[38:39], v[26:27]
	v_pk_add_f32 v[38:39], v[12:13], v[10:11]
	v_pk_add_f32 v[10:11], v[12:13], v[10:11] neg_lo:[0,1] neg_hi:[0,1]
	v_pk_mul_f32 v[52:53], v[6:7], s[20:21] op_sel_hi:[1,0]
	v_pk_mul_f32 v[12:13], v[10:11], s[20:21] op_sel_hi:[1,0]
	v_pk_fma_f32 v[54:55], v[28:29], s[18:19], v[52:53] op_sel:[0,0,1] op_sel_hi:[1,0,0]
	v_pk_fma_f32 v[40:41], v[38:39], s[18:19], v[12:13] op_sel:[0,0,1] op_sel_hi:[1,0,0]
	v_pk_fma_f32 v[12:13], v[38:39], s[18:19], v[12:13] op_sel:[0,0,1] op_sel_hi:[1,0,0] neg_lo:[0,0,1] neg_hi:[0,0,1]
	v_mov_b32_e32 v42, v40
	v_mov_b32_e32 v43, v13
	v_pk_add_f32 v[26:27], v[42:43], v[26:27]
	v_pk_add_f32 v[42:43], v[14:15], v[8:9]
	v_pk_add_f32 v[8:9], v[14:15], v[8:9] neg_lo:[0,1] neg_hi:[0,1]
	v_pk_fma_f32 v[52:53], v[28:29], s[18:19], v[52:53] op_sel:[0,0,1] op_sel_hi:[1,0,0] neg_lo:[0,0,1] neg_hi:[0,0,1]
	v_pk_mul_f32 v[14:15], v[8:9], s[24:25] op_sel_hi:[1,0]
	v_mov_b32_e32 v56, v54
	v_pk_fma_f32 v[44:45], v[42:43], s[22:23], v[14:15] op_sel:[0,0,1] op_sel_hi:[1,0,0]
	v_pk_fma_f32 v[14:15], v[42:43], s[22:23], v[14:15] op_sel:[0,0,1] op_sel_hi:[1,0,0] neg_lo:[0,0,1] neg_hi:[0,0,1]
	v_mov_b32_e32 v46, v44
	v_mov_b32_e32 v47, v15
	v_pk_add_f32 v[26:27], v[46:47], v[26:27]
	v_pk_fma_f32 v[46:47], v[2:3], s[2:3], v[0:1] op_sel:[0,0,1] op_sel_hi:[1,0,0]
	v_pk_fma_f32 v[0:1], v[2:3], s[2:3], v[0:1] op_sel:[0,0,1] op_sel_hi:[1,0,0] neg_lo:[0,0,1] neg_hi:[0,0,1]
	v_mov_b32_e32 v48, v46
	v_mov_b32_e32 v49, v1
	v_pk_add_f32 v[48:49], v[20:21], v[48:49]
	v_mov_b32_e32 v57, v53
	s_mov_b32 s26, 0x3e903f40
	v_pk_add_f32 v[48:49], v[56:57], v[48:49]
	v_pk_mul_f32 v[56:57], v[4:5], s[26:27] op_sel_hi:[1,0]
	v_pk_mul_f32 v[70:71], v[6:7], s[26:27] op_sel_hi:[1,0]
	v_pk_fma_f32 v[58:59], v[34:35], s[22:23], v[56:57] op_sel:[0,0,1] op_sel_hi:[1,0,0]
	v_pk_fma_f32 v[56:57], v[34:35], s[22:23], v[56:57] op_sel:[0,0,1] op_sel_hi:[1,0,0] neg_lo:[0,0,1] neg_hi:[0,0,1]
	v_mov_b32_e32 v60, v58
	v_mov_b32_e32 v61, v57
	v_pk_add_f32 v[48:49], v[60:61], v[48:49]
	v_pk_mul_f32 v[60:61], v[10:11], s[28:29] op_sel_hi:[1,0]
	v_pk_fma_f32 v[72:73], v[28:29], s[22:23], v[70:71] op_sel:[0,0,1] op_sel_hi:[1,0,0]
	v_pk_fma_f32 v[62:63], v[38:39], s[10:11], v[60:61] op_sel:[0,0,1] op_sel_hi:[1,0,0]
	v_pk_fma_f32 v[60:61], v[38:39], s[10:11], v[60:61] op_sel:[0,0,1] op_sel_hi:[1,0,0] neg_lo:[0,0,1] neg_hi:[0,0,1]
	v_mov_b32_e32 v64, v62
	v_mov_b32_e32 v65, v61
	v_pk_add_f32 v[48:49], v[64:65], v[48:49]
	v_pk_mul_f32 v[64:65], v[8:9], s[30:31] op_sel_hi:[1,0]
	v_pk_fma_f32 v[70:71], v[28:29], s[22:23], v[70:71] op_sel:[0,0,1] op_sel_hi:[1,0,0] neg_lo:[0,0,1] neg_hi:[0,0,1]
	v_pk_fma_f32 v[66:67], v[42:43], s[0:1], v[64:65] op_sel:[0,0,1] op_sel_hi:[1,0,0]
	v_pk_fma_f32 v[64:65], v[42:43], s[0:1], v[64:65] op_sel:[0,0,1] op_sel_hi:[1,0,0] neg_lo:[0,0,1] neg_hi:[0,0,1]
	v_mov_b32_e32 v68, v66
	v_mov_b32_e32 v69, v65
	v_pk_add_f32 v[48:49], v[68:69], v[48:49]
	ds_write2_b64 v51, v[26:27], v[48:49] offset0:34 offset1:68
	v_pk_mul_f32 v[26:27], v[16:17], s[14:15] op_sel_hi:[1,0]
	v_mov_b32_e32 v74, v72
	v_pk_fma_f32 v[48:49], v[2:3], s[10:11], v[26:27] op_sel:[0,0,1] op_sel_hi:[1,0,0]
	v_pk_fma_f32 v[26:27], v[2:3], s[10:11], v[26:27] op_sel:[0,0,1] op_sel_hi:[1,0,0] neg_lo:[0,0,1] neg_hi:[0,0,1]
	v_mov_b32_e32 v68, v48
	v_mov_b32_e32 v69, v27
	v_pk_add_f32 v[68:69], v[20:21], v[68:69]
	v_mov_b32_e32 v75, v71
	s_mov_b32 s26, 0x3f68dda4
	v_pk_add_f32 v[68:69], v[74:75], v[68:69]
	v_pk_mul_f32 v[74:75], v[4:5], s[26:27] op_sel_hi:[1,0]
	v_pk_mul_f32 v[92:93], v[6:7], s[28:29] op_sel_hi:[1,0]
	v_pk_fma_f32 v[76:77], v[34:35], s[2:3], v[74:75] op_sel:[0,0,1] op_sel_hi:[1,0,0]
	v_pk_fma_f32 v[74:75], v[34:35], s[2:3], v[74:75] op_sel:[0,0,1] op_sel_hi:[1,0,0] neg_lo:[0,0,1] neg_hi:[0,0,1]
	v_mov_b32_e32 v78, v76
	v_mov_b32_e32 v79, v75
	v_pk_add_f32 v[68:69], v[78:79], v[68:69]
	v_pk_mul_f32 v[78:79], v[10:11], s[16:17] op_sel_hi:[1,0]
	v_pk_fma_f32 v[94:95], v[28:29], s[10:11], v[92:93] op_sel:[0,0,1] op_sel_hi:[1,0,0]
	v_pk_fma_f32 v[80:81], v[38:39], s[0:1], v[78:79] op_sel:[0,0,1] op_sel_hi:[1,0,0]
	v_pk_fma_f32 v[78:79], v[38:39], s[0:1], v[78:79] op_sel:[0,0,1] op_sel_hi:[1,0,0] neg_lo:[0,0,1] neg_hi:[0,0,1]
	v_mov_b32_e32 v82, v80
	v_mov_b32_e32 v83, v79
	v_pk_add_f32 v[68:69], v[82:83], v[68:69]
	v_pk_mul_f32 v[82:83], v[8:9], s[20:21] op_sel_hi:[1,0]
	v_pk_fma_f32 v[92:93], v[28:29], s[10:11], v[92:93] op_sel:[0,0,1] op_sel_hi:[1,0,0] neg_lo:[0,0,1] neg_hi:[0,0,1]
	v_pk_fma_f32 v[84:85], v[42:43], s[18:19], v[82:83] op_sel:[0,0,1] op_sel_hi:[1,0,0]
	v_pk_fma_f32 v[82:83], v[42:43], s[18:19], v[82:83] op_sel:[0,0,1] op_sel_hi:[1,0,0] neg_lo:[0,0,1] neg_hi:[0,0,1]
	v_mov_b32_e32 v86, v84
	v_mov_b32_e32 v87, v83
	v_pk_add_f32 v[68:69], v[86:87], v[68:69]
	v_pk_mul_f32 v[86:87], v[16:17], s[20:21] op_sel_hi:[1,0]
	v_mov_b32_e32 v96, v94
	v_pk_fma_f32 v[88:89], v[2:3], s[18:19], v[86:87] op_sel:[0,0,1] op_sel_hi:[1,0,0]
	v_pk_fma_f32 v[86:87], v[2:3], s[18:19], v[86:87] op_sel:[0,0,1] op_sel_hi:[1,0,0] neg_lo:[0,0,1] neg_hi:[0,0,1]
	v_mov_b32_e32 v90, v88
	v_mov_b32_e32 v91, v87
	v_pk_add_f32 v[90:91], v[20:21], v[90:91]
	v_mov_b32_e32 v97, v93
	v_pk_add_f32 v[90:91], v[96:97], v[90:91]
	v_pk_mul_f32 v[96:97], v[4:5], s[16:17] op_sel_hi:[1,0]
	v_pk_mul_f32 v[16:17], v[16:17], s[24:25] op_sel_hi:[1,0]
	v_pk_fma_f32 v[98:99], v[34:35], s[0:1], v[96:97] op_sel:[0,0,1] op_sel_hi:[1,0,0]
	v_pk_fma_f32 v[96:97], v[34:35], s[0:1], v[96:97] op_sel:[0,0,1] op_sel_hi:[1,0,0] neg_lo:[0,0,1] neg_hi:[0,0,1]
	v_mov_b32_e32 v100, v98
	v_mov_b32_e32 v101, v97
	v_pk_add_f32 v[90:91], v[100:101], v[90:91]
	v_pk_mul_f32 v[100:101], v[10:11], s[24:25] op_sel_hi:[1,0]
	v_pk_mul_f32 v[6:7], v[6:7], s[30:31] op_sel_hi:[1,0]
	v_pk_fma_f32 v[102:103], v[38:39], s[22:23], v[100:101] op_sel:[0,0,1] op_sel_hi:[1,0,0]
	v_pk_fma_f32 v[100:101], v[38:39], s[22:23], v[100:101] op_sel:[0,0,1] op_sel_hi:[1,0,0] neg_lo:[0,0,1] neg_hi:[0,0,1]
	v_mov_b32_e32 v104, v102
	;; [unrolled: 7-line block ×3, first 2 shown]
	v_mov_b32_e32 v109, v105
	v_pk_add_f32 v[90:91], v[108:109], v[90:91]
	ds_write2_b64 v51, v[68:69], v[90:91] offset0:102 offset1:136
	v_pk_fma_f32 v[68:69], v[2:3], s[22:23], v[16:17] op_sel:[0,0,1] op_sel_hi:[1,0,0]
	v_pk_fma_f32 v[2:3], v[2:3], s[22:23], v[16:17] op_sel:[0,0,1] op_sel_hi:[1,0,0] neg_lo:[0,0,1] neg_hi:[0,0,1]
	v_mov_b32_e32 v16, v68
	v_mov_b32_e32 v17, v3
	v_pk_fma_f32 v[90:91], v[28:29], s[0:1], v[6:7] op_sel:[0,0,1] op_sel_hi:[1,0,0]
	v_pk_fma_f32 v[6:7], v[28:29], s[0:1], v[6:7] op_sel:[0,0,1] op_sel_hi:[1,0,0] neg_lo:[0,0,1] neg_hi:[0,0,1]
	v_pk_add_f32 v[16:17], v[20:21], v[16:17]
	v_mov_b32_e32 v28, v90
	v_mov_b32_e32 v29, v7
	v_pk_add_f32 v[16:17], v[28:29], v[16:17]
	v_pk_fma_f32 v[28:29], v[34:35], s[18:19], v[4:5] op_sel:[0,0,1] op_sel_hi:[1,0,0]
	v_pk_fma_f32 v[4:5], v[34:35], s[18:19], v[4:5] op_sel:[0,0,1] op_sel_hi:[1,0,0] neg_lo:[0,0,1] neg_hi:[0,0,1]
	v_mov_b32_e32 v34, v28
	v_mov_b32_e32 v35, v5
	v_pk_mul_f32 v[10:11], v[10:11], s[26:27] op_sel_hi:[1,0]
	v_mov_b32_e32 v3, v69
	v_pk_add_f32 v[16:17], v[34:35], v[16:17]
	v_pk_fma_f32 v[34:35], v[38:39], s[2:3], v[10:11] op_sel:[0,0,1] op_sel_hi:[1,0,0]
	v_pk_fma_f32 v[10:11], v[38:39], s[2:3], v[10:11] op_sel:[0,0,1] op_sel_hi:[1,0,0] neg_lo:[0,0,1] neg_hi:[0,0,1]
	v_pk_add_f32 v[2:3], v[20:21], v[2:3]
	v_mov_b32_e32 v7, v91
	v_mov_b32_e32 v38, v34
	;; [unrolled: 1-line block ×3, first 2 shown]
	v_pk_mul_f32 v[8:9], v[8:9], s[14:15] op_sel_hi:[1,0]
	v_pk_add_f32 v[2:3], v[6:7], v[2:3]
	v_mov_b32_e32 v5, v29
	v_pk_add_f32 v[16:17], v[38:39], v[16:17]
	v_pk_fma_f32 v[38:39], v[42:43], s[10:11], v[8:9] op_sel:[0,0,1] op_sel_hi:[1,0,0]
	v_pk_fma_f32 v[8:9], v[42:43], s[10:11], v[8:9] op_sel:[0,0,1] op_sel_hi:[1,0,0] neg_lo:[0,0,1] neg_hi:[0,0,1]
	v_pk_add_f32 v[2:3], v[4:5], v[2:3]
	v_mov_b32_e32 v11, v35
	v_mov_b32_e32 v42, v38
	;; [unrolled: 1-line block ×3, first 2 shown]
	v_pk_add_f32 v[2:3], v[10:11], v[2:3]
	v_mov_b32_e32 v9, v39
	v_pk_add_f32 v[16:17], v[42:43], v[16:17]
	v_pk_add_f32 v[2:3], v[8:9], v[2:3]
	v_mov_b32_e32 v87, v89
	ds_write2_b64 v51, v[16:17], v[2:3] offset0:170 offset1:204
	v_pk_add_f32 v[2:3], v[20:21], v[86:87]
	v_mov_b32_e32 v93, v95
	v_pk_add_f32 v[2:3], v[92:93], v[2:3]
	v_mov_b32_e32 v97, v99
	;; [unrolled: 2-line block ×4, first 2 shown]
	v_mov_b32_e32 v27, v49
	v_pk_add_f32 v[4:5], v[104:105], v[2:3]
	v_pk_add_f32 v[2:3], v[20:21], v[26:27]
	v_mov_b32_e32 v71, v73
	v_pk_add_f32 v[2:3], v[70:71], v[2:3]
	v_mov_b32_e32 v75, v77
	;; [unrolled: 2-line block ×4, first 2 shown]
	v_pk_add_f32 v[6:7], v[82:83], v[2:3]
	v_add_u32_e32 v3, 0x400, v51
	v_mov_b32_e32 v1, v47
	v_mov_b32_e32 v19, v23
	ds_write2_b64 v3, v[4:5], v[6:7] offset0:110 offset1:144
	v_pk_add_f32 v[0:1], v[20:21], v[0:1]
	v_mov_b32_e32 v53, v55
	v_pk_add_f32 v[4:5], v[20:21], v[18:19]
	v_mov_b32_e32 v31, v33
	;; [unrolled: 2-line block ×8, first 2 shown]
	v_pk_add_f32 v[0:1], v[64:65], v[0:1]
	v_pk_add_f32 v[4:5], v[14:15], v[4:5]
	v_add_u32_e32 v2, 0x800, v51
	s_and_b64 s[0:1], exec, vcc
	v_accvgpr_read_b32 v18, a4
	ds_write2_b64 v2, v[0:1], v[4:5] offset0:50 offset1:84
	s_waitcnt lgkmcnt(0)
	s_barrier
	s_mov_b64 exec, s[0:1]
	s_cbranch_execz .LBB0_23
; %bb.22:
	v_accvgpr_read_b32 v16, a2
	global_load_dwordx2 v[4:5], v16, s[8:9]
	ds_read_b64 v[8:9], v51
	v_mad_u64_u32 v[6:7], s[0:1], s6, v18, 0
	v_mov_b32_e32 v12, v7
	v_mad_u64_u32 v[12:13], s[2:3], s7, v18, v[12:13]
	v_mov_b32_e32 v0, s12
	v_mov_b32_e32 v1, s13
	v_mov_b32_e32 v7, v12
	v_mad_u64_u32 v[10:11], s[2:3], s4, v136, 0
	v_lshl_add_u64 v[0:1], v[6:7], 3, v[0:1]
	s_mov_b32 s0, 0xb8d015e7
	v_mov_b32_e32 v14, v11
	s_mov_b32 s1, 0x3f65e75b
	v_mad_u64_u32 v[14:15], s[2:3], s5, v136, v[14:15]
	v_mov_b32_e32 v11, v14
	v_lshl_add_u64 v[10:11], v[10:11], 3, v[0:1]
	v_mov_b32_e32 v12, 0xb0
	s_mul_i32 s2, s5, 0xb0
	s_waitcnt vmcnt(0) lgkmcnt(0)
	v_mul_f32_e32 v6, v9, v5
	v_mul_f32_e32 v5, v8, v5
	v_fmac_f32_e32 v6, v8, v4
	v_fma_f32 v7, v4, v9, -v5
	v_cvt_f64_f32_e32 v[4:5], v6
	v_cvt_f64_f32_e32 v[6:7], v7
	v_mul_f64 v[4:5], v[4:5], s[0:1]
	v_mul_f64 v[6:7], v[6:7], s[0:1]
	v_cvt_f32_f64_e32 v4, v[4:5]
	v_cvt_f32_f64_e32 v5, v[6:7]
	global_store_dwordx2 v[10:11], v[4:5], off
	global_load_dwordx2 v[8:9], v16, s[8:9] offset:176
	ds_read2_b64 v[4:7], v51 offset0:22 offset1:44
	v_mad_u64_u32 v[10:11], s[6:7], s4, v12, v[10:11]
	v_add_u32_e32 v11, s2, v11
	s_waitcnt vmcnt(0) lgkmcnt(0)
	v_mul_f32_e32 v13, v5, v9
	v_mul_f32_e32 v9, v4, v9
	v_fmac_f32_e32 v13, v4, v8
	v_fma_f32 v8, v8, v5, -v9
	v_cvt_f64_f32_e32 v[4:5], v13
	v_cvt_f64_f32_e32 v[8:9], v8
	v_mul_f64 v[4:5], v[4:5], s[0:1]
	v_mul_f64 v[8:9], v[8:9], s[0:1]
	v_cvt_f32_f64_e32 v4, v[4:5]
	v_cvt_f32_f64_e32 v5, v[8:9]
	global_store_dwordx2 v[10:11], v[4:5], off
	global_load_dwordx2 v[4:5], v16, s[8:9] offset:352
	v_mad_u64_u32 v[8:9], s[6:7], s4, v12, v[10:11]
	v_add_u32_e32 v9, s2, v9
	s_waitcnt vmcnt(0)
	v_mul_f32_e32 v10, v7, v5
	v_mul_f32_e32 v5, v6, v5
	v_fmac_f32_e32 v10, v6, v4
	v_fma_f32 v6, v4, v7, -v5
	v_cvt_f64_f32_e32 v[4:5], v10
	v_cvt_f64_f32_e32 v[6:7], v6
	v_mul_f64 v[4:5], v[4:5], s[0:1]
	v_mul_f64 v[6:7], v[6:7], s[0:1]
	v_cvt_f32_f64_e32 v4, v[4:5]
	v_cvt_f32_f64_e32 v5, v[6:7]
	global_store_dwordx2 v[8:9], v[4:5], off
	global_load_dwordx2 v[10:11], v16, s[8:9] offset:528
	ds_read2_b64 v[4:7], v51 offset0:66 offset1:88
	v_mad_u64_u32 v[8:9], s[6:7], s4, v12, v[8:9]
	v_add_u32_e32 v9, s2, v9
	s_waitcnt vmcnt(0) lgkmcnt(0)
	v_mul_f32_e32 v13, v5, v11
	v_mul_f32_e32 v11, v4, v11
	v_fmac_f32_e32 v13, v4, v10
	v_fma_f32 v10, v10, v5, -v11
	v_cvt_f64_f32_e32 v[4:5], v13
	v_cvt_f64_f32_e32 v[10:11], v10
	v_mul_f64 v[4:5], v[4:5], s[0:1]
	v_mul_f64 v[10:11], v[10:11], s[0:1]
	v_cvt_f32_f64_e32 v4, v[4:5]
	v_cvt_f32_f64_e32 v5, v[10:11]
	global_store_dwordx2 v[8:9], v[4:5], off
	global_load_dwordx2 v[4:5], v16, s[8:9] offset:704
	v_mad_u64_u32 v[8:9], s[6:7], s4, v12, v[8:9]
	v_add_u32_e32 v9, s2, v9
	s_waitcnt vmcnt(0)
	;; [unrolled: 31-line block ×7, first 2 shown]
	v_mul_f32_e32 v3, v7, v5
	v_mul_f32_e32 v5, v6, v5
	v_fmac_f32_e32 v3, v6, v4
	v_fma_f32 v6, v4, v7, -v5
	v_cvt_f64_f32_e32 v[4:5], v3
	v_cvt_f64_f32_e32 v[6:7], v6
	v_mul_f64 v[4:5], v[4:5], s[0:1]
	v_mul_f64 v[6:7], v[6:7], s[0:1]
	v_cvt_f32_f64_e32 v4, v[4:5]
	v_cvt_f32_f64_e32 v5, v[6:7]
	global_store_dwordx2 v[8:9], v[4:5], off
	global_load_dwordx2 v[6:7], v16, s[8:9] offset:2640
	ds_read2_b64 v[2:5], v2 offset0:74 offset1:96
	v_mad_u64_u32 v[8:9], s[6:7], s4, v12, v[8:9]
	v_add_u32_e32 v9, s2, v9
	s_waitcnt vmcnt(0) lgkmcnt(0)
	v_mul_f32_e32 v10, v3, v7
	v_mul_f32_e32 v7, v2, v7
	v_fmac_f32_e32 v10, v2, v6
	v_fma_f32 v6, v6, v3, -v7
	v_cvt_f64_f32_e32 v[2:3], v10
	v_cvt_f64_f32_e32 v[6:7], v6
	v_mul_f64 v[2:3], v[2:3], s[0:1]
	v_mul_f64 v[6:7], v[6:7], s[0:1]
	v_cvt_f32_f64_e32 v2, v[2:3]
	v_cvt_f32_f64_e32 v3, v[6:7]
	global_store_dwordx2 v[8:9], v[2:3], off
	global_load_dwordx2 v[2:3], v16, s[8:9] offset:2816
	v_or_b32_e32 v9, 0x160, v136
	v_mad_u64_u32 v[6:7], s[2:3], s4, v9, 0
	v_mov_b32_e32 v8, v7
	v_mad_u64_u32 v[8:9], s[2:3], s5, v9, v[8:9]
	v_mov_b32_e32 v7, v8
	v_lshl_add_u64 v[0:1], v[6:7], 3, v[0:1]
	s_waitcnt vmcnt(0)
	v_mul_f32_e32 v8, v5, v3
	v_mul_f32_e32 v3, v4, v3
	v_fmac_f32_e32 v8, v4, v2
	v_fma_f32 v4, v2, v5, -v3
	v_cvt_f64_f32_e32 v[2:3], v8
	v_cvt_f64_f32_e32 v[4:5], v4
	v_mul_f64 v[2:3], v[2:3], s[0:1]
	v_mul_f64 v[4:5], v[4:5], s[0:1]
	v_cvt_f32_f64_e32 v2, v[2:3]
	v_cvt_f32_f64_e32 v3, v[4:5]
	global_store_dwordx2 v[0:1], v[2:3], off
.LBB0_23:
	s_endpgm
	.section	.rodata,"a",@progbits
	.p2align	6, 0x0
	.amdhsa_kernel bluestein_single_back_len374_dim1_sp_op_CI_CI
		.amdhsa_group_segment_fixed_size 20944
		.amdhsa_private_segment_fixed_size 0
		.amdhsa_kernarg_size 104
		.amdhsa_user_sgpr_count 2
		.amdhsa_user_sgpr_dispatch_ptr 0
		.amdhsa_user_sgpr_queue_ptr 0
		.amdhsa_user_sgpr_kernarg_segment_ptr 1
		.amdhsa_user_sgpr_dispatch_id 0
		.amdhsa_user_sgpr_kernarg_preload_length 0
		.amdhsa_user_sgpr_kernarg_preload_offset 0
		.amdhsa_user_sgpr_private_segment_size 0
		.amdhsa_uses_dynamic_stack 0
		.amdhsa_enable_private_segment 0
		.amdhsa_system_sgpr_workgroup_id_x 1
		.amdhsa_system_sgpr_workgroup_id_y 0
		.amdhsa_system_sgpr_workgroup_id_z 0
		.amdhsa_system_sgpr_workgroup_info 0
		.amdhsa_system_vgpr_workitem_id 0
		.amdhsa_next_free_vgpr 306
		.amdhsa_next_free_sgpr 76
		.amdhsa_accum_offset 256
		.amdhsa_reserve_vcc 1
		.amdhsa_float_round_mode_32 0
		.amdhsa_float_round_mode_16_64 0
		.amdhsa_float_denorm_mode_32 3
		.amdhsa_float_denorm_mode_16_64 3
		.amdhsa_dx10_clamp 1
		.amdhsa_ieee_mode 1
		.amdhsa_fp16_overflow 0
		.amdhsa_tg_split 0
		.amdhsa_exception_fp_ieee_invalid_op 0
		.amdhsa_exception_fp_denorm_src 0
		.amdhsa_exception_fp_ieee_div_zero 0
		.amdhsa_exception_fp_ieee_overflow 0
		.amdhsa_exception_fp_ieee_underflow 0
		.amdhsa_exception_fp_ieee_inexact 0
		.amdhsa_exception_int_div_zero 0
	.end_amdhsa_kernel
	.text
.Lfunc_end0:
	.size	bluestein_single_back_len374_dim1_sp_op_CI_CI, .Lfunc_end0-bluestein_single_back_len374_dim1_sp_op_CI_CI
                                        ; -- End function
	.section	.AMDGPU.csdata,"",@progbits
; Kernel info:
; codeLenInByte = 19536
; NumSgprs: 82
; NumVgprs: 256
; NumAgprs: 50
; TotalNumVgprs: 306
; ScratchSize: 0
; MemoryBound: 0
; FloatMode: 240
; IeeeMode: 1
; LDSByteSize: 20944 bytes/workgroup (compile time only)
; SGPRBlocks: 10
; VGPRBlocks: 38
; NumSGPRsForWavesPerEU: 82
; NumVGPRsForWavesPerEU: 306
; AccumOffset: 256
; Occupancy: 1
; WaveLimiterHint : 1
; COMPUTE_PGM_RSRC2:SCRATCH_EN: 0
; COMPUTE_PGM_RSRC2:USER_SGPR: 2
; COMPUTE_PGM_RSRC2:TRAP_HANDLER: 0
; COMPUTE_PGM_RSRC2:TGID_X_EN: 1
; COMPUTE_PGM_RSRC2:TGID_Y_EN: 0
; COMPUTE_PGM_RSRC2:TGID_Z_EN: 0
; COMPUTE_PGM_RSRC2:TIDIG_COMP_CNT: 0
; COMPUTE_PGM_RSRC3_GFX90A:ACCUM_OFFSET: 63
; COMPUTE_PGM_RSRC3_GFX90A:TG_SPLIT: 0
	.text
	.p2alignl 6, 3212836864
	.fill 256, 4, 3212836864
	.type	__hip_cuid_37f0eedff2f9c2b9,@object ; @__hip_cuid_37f0eedff2f9c2b9
	.section	.bss,"aw",@nobits
	.globl	__hip_cuid_37f0eedff2f9c2b9
__hip_cuid_37f0eedff2f9c2b9:
	.byte	0                               ; 0x0
	.size	__hip_cuid_37f0eedff2f9c2b9, 1

	.ident	"AMD clang version 19.0.0git (https://github.com/RadeonOpenCompute/llvm-project roc-6.4.0 25133 c7fe45cf4b819c5991fe208aaa96edf142730f1d)"
	.section	".note.GNU-stack","",@progbits
	.addrsig
	.addrsig_sym __hip_cuid_37f0eedff2f9c2b9
	.amdgpu_metadata
---
amdhsa.kernels:
  - .agpr_count:     50
    .args:
      - .actual_access:  read_only
        .address_space:  global
        .offset:         0
        .size:           8
        .value_kind:     global_buffer
      - .actual_access:  read_only
        .address_space:  global
        .offset:         8
        .size:           8
        .value_kind:     global_buffer
      - .actual_access:  read_only
        .address_space:  global
        .offset:         16
        .size:           8
        .value_kind:     global_buffer
      - .actual_access:  read_only
        .address_space:  global
        .offset:         24
        .size:           8
        .value_kind:     global_buffer
      - .actual_access:  read_only
        .address_space:  global
        .offset:         32
        .size:           8
        .value_kind:     global_buffer
      - .offset:         40
        .size:           8
        .value_kind:     by_value
      - .address_space:  global
        .offset:         48
        .size:           8
        .value_kind:     global_buffer
      - .address_space:  global
        .offset:         56
        .size:           8
        .value_kind:     global_buffer
      - .address_space:  global
        .offset:         64
        .size:           8
        .value_kind:     global_buffer
      - .address_space:  global
        .offset:         72
        .size:           8
        .value_kind:     global_buffer
      - .offset:         80
        .size:           4
        .value_kind:     by_value
      - .address_space:  global
        .offset:         88
        .size:           8
        .value_kind:     global_buffer
      - .address_space:  global
        .offset:         96
        .size:           8
        .value_kind:     global_buffer
    .group_segment_fixed_size: 20944
    .kernarg_segment_align: 8
    .kernarg_segment_size: 104
    .language:       OpenCL C
    .language_version:
      - 2
      - 0
    .max_flat_workgroup_size: 238
    .name:           bluestein_single_back_len374_dim1_sp_op_CI_CI
    .private_segment_fixed_size: 0
    .sgpr_count:     82
    .sgpr_spill_count: 0
    .symbol:         bluestein_single_back_len374_dim1_sp_op_CI_CI.kd
    .uniform_work_group_size: 1
    .uses_dynamic_stack: false
    .vgpr_count:     306
    .vgpr_spill_count: 0
    .wavefront_size: 64
amdhsa.target:   amdgcn-amd-amdhsa--gfx950
amdhsa.version:
  - 1
  - 2
...

	.end_amdgpu_metadata
